;; amdgpu-corpus repo=ROCm/rocSOLVER kind=compiled arch=gfx1250 opt=O3
	.amdgcn_target "amdgcn-amd-amdhsa--gfx1250"
	.amdhsa_code_object_version 6
	.section	.text._ZN9rocsolver6v33100L10reset_infoIiiiEEvPT_T0_T1_S4_,"axG",@progbits,_ZN9rocsolver6v33100L10reset_infoIiiiEEvPT_T0_T1_S4_,comdat
	.globl	_ZN9rocsolver6v33100L10reset_infoIiiiEEvPT_T0_T1_S4_ ; -- Begin function _ZN9rocsolver6v33100L10reset_infoIiiiEEvPT_T0_T1_S4_
	.p2align	8
	.type	_ZN9rocsolver6v33100L10reset_infoIiiiEEvPT_T0_T1_S4_,@function
_ZN9rocsolver6v33100L10reset_infoIiiiEEvPT_T0_T1_S4_: ; @_ZN9rocsolver6v33100L10reset_infoIiiiEEvPT_T0_T1_S4_
; %bb.0:
	s_clause 0x1
	s_load_b32 s2, s[0:1], 0x24
	s_load_b96 s[4:6], s[0:1], 0x8
	s_bfe_u32 s3, ttmp6, 0x4000c
	s_and_b32 s7, ttmp6, 15
	s_add_co_i32 s3, s3, 1
	s_getreg_b32 s8, hwreg(HW_REG_IB_STS2, 6, 4)
	s_mul_i32 s3, ttmp9, s3
	s_delay_alu instid0(SALU_CYCLE_1) | instskip(SKIP_4) | instid1(SALU_CYCLE_1)
	s_add_co_i32 s7, s7, s3
	s_wait_kmcnt 0x0
	s_and_b32 s2, s2, 0xffff
	s_cmp_eq_u32 s8, 0
	s_cselect_b32 s3, ttmp9, s7
	v_mad_u32 v0, s3, s2, v0
	s_mov_b32 s2, exec_lo
	s_delay_alu instid0(VALU_DEP_1)
	v_cmpx_gt_i32_e64 s4, v0
	s_cbranch_execz .LBB0_2
; %bb.1:
	s_load_b64 s[0:1], s[0:1], 0x0
	v_mad_u32 v1, v0, s6, s5
	s_wait_kmcnt 0x0
	global_store_b32 v0, v1, s[0:1] scale_offset
.LBB0_2:
	s_endpgm
	.section	.rodata,"a",@progbits
	.p2align	6, 0x0
	.amdhsa_kernel _ZN9rocsolver6v33100L10reset_infoIiiiEEvPT_T0_T1_S4_
		.amdhsa_group_segment_fixed_size 0
		.amdhsa_private_segment_fixed_size 0
		.amdhsa_kernarg_size 280
		.amdhsa_user_sgpr_count 2
		.amdhsa_user_sgpr_dispatch_ptr 0
		.amdhsa_user_sgpr_queue_ptr 0
		.amdhsa_user_sgpr_kernarg_segment_ptr 1
		.amdhsa_user_sgpr_dispatch_id 0
		.amdhsa_user_sgpr_kernarg_preload_length 0
		.amdhsa_user_sgpr_kernarg_preload_offset 0
		.amdhsa_user_sgpr_private_segment_size 0
		.amdhsa_wavefront_size32 1
		.amdhsa_uses_dynamic_stack 0
		.amdhsa_enable_private_segment 0
		.amdhsa_system_sgpr_workgroup_id_x 1
		.amdhsa_system_sgpr_workgroup_id_y 0
		.amdhsa_system_sgpr_workgroup_id_z 0
		.amdhsa_system_sgpr_workgroup_info 0
		.amdhsa_system_vgpr_workitem_id 0
		.amdhsa_next_free_vgpr 2
		.amdhsa_next_free_sgpr 9
		.amdhsa_named_barrier_count 0
		.amdhsa_reserve_vcc 0
		.amdhsa_float_round_mode_32 0
		.amdhsa_float_round_mode_16_64 0
		.amdhsa_float_denorm_mode_32 3
		.amdhsa_float_denorm_mode_16_64 3
		.amdhsa_fp16_overflow 0
		.amdhsa_memory_ordered 1
		.amdhsa_forward_progress 1
		.amdhsa_inst_pref_size 2
		.amdhsa_round_robin_scheduling 0
		.amdhsa_exception_fp_ieee_invalid_op 0
		.amdhsa_exception_fp_denorm_src 0
		.amdhsa_exception_fp_ieee_div_zero 0
		.amdhsa_exception_fp_ieee_overflow 0
		.amdhsa_exception_fp_ieee_underflow 0
		.amdhsa_exception_fp_ieee_inexact 0
		.amdhsa_exception_int_div_zero 0
	.end_amdhsa_kernel
	.section	.text._ZN9rocsolver6v33100L10reset_infoIiiiEEvPT_T0_T1_S4_,"axG",@progbits,_ZN9rocsolver6v33100L10reset_infoIiiiEEvPT_T0_T1_S4_,comdat
.Lfunc_end0:
	.size	_ZN9rocsolver6v33100L10reset_infoIiiiEEvPT_T0_T1_S4_, .Lfunc_end0-_ZN9rocsolver6v33100L10reset_infoIiiiEEvPT_T0_T1_S4_
                                        ; -- End function
	.set _ZN9rocsolver6v33100L10reset_infoIiiiEEvPT_T0_T1_S4_.num_vgpr, 2
	.set _ZN9rocsolver6v33100L10reset_infoIiiiEEvPT_T0_T1_S4_.num_agpr, 0
	.set _ZN9rocsolver6v33100L10reset_infoIiiiEEvPT_T0_T1_S4_.numbered_sgpr, 9
	.set _ZN9rocsolver6v33100L10reset_infoIiiiEEvPT_T0_T1_S4_.num_named_barrier, 0
	.set _ZN9rocsolver6v33100L10reset_infoIiiiEEvPT_T0_T1_S4_.private_seg_size, 0
	.set _ZN9rocsolver6v33100L10reset_infoIiiiEEvPT_T0_T1_S4_.uses_vcc, 0
	.set _ZN9rocsolver6v33100L10reset_infoIiiiEEvPT_T0_T1_S4_.uses_flat_scratch, 0
	.set _ZN9rocsolver6v33100L10reset_infoIiiiEEvPT_T0_T1_S4_.has_dyn_sized_stack, 0
	.set _ZN9rocsolver6v33100L10reset_infoIiiiEEvPT_T0_T1_S4_.has_recursion, 0
	.set _ZN9rocsolver6v33100L10reset_infoIiiiEEvPT_T0_T1_S4_.has_indirect_call, 0
	.section	.AMDGPU.csdata,"",@progbits
; Kernel info:
; codeLenInByte = 136
; TotalNumSgprs: 9
; NumVgprs: 2
; ScratchSize: 0
; MemoryBound: 0
; FloatMode: 240
; IeeeMode: 1
; LDSByteSize: 0 bytes/workgroup (compile time only)
; SGPRBlocks: 0
; VGPRBlocks: 0
; NumSGPRsForWavesPerEU: 9
; NumVGPRsForWavesPerEU: 2
; NamedBarCnt: 0
; Occupancy: 16
; WaveLimiterHint : 0
; COMPUTE_PGM_RSRC2:SCRATCH_EN: 0
; COMPUTE_PGM_RSRC2:USER_SGPR: 2
; COMPUTE_PGM_RSRC2:TRAP_HANDLER: 0
; COMPUTE_PGM_RSRC2:TGID_X_EN: 1
; COMPUTE_PGM_RSRC2:TGID_Y_EN: 0
; COMPUTE_PGM_RSRC2:TGID_Z_EN: 0
; COMPUTE_PGM_RSRC2:TIDIG_COMP_CNT: 0
	.section	.text._ZN9rocsolver6v33100L12sterf_kernelIfEEviPT_lS3_lPiS4_iS2_S2_S2_,"axG",@progbits,_ZN9rocsolver6v33100L12sterf_kernelIfEEviPT_lS3_lPiS4_iS2_S2_S2_,comdat
	.globl	_ZN9rocsolver6v33100L12sterf_kernelIfEEviPT_lS3_lPiS4_iS2_S2_S2_ ; -- Begin function _ZN9rocsolver6v33100L12sterf_kernelIfEEviPT_lS3_lPiS4_iS2_S2_S2_
	.p2align	8
	.type	_ZN9rocsolver6v33100L12sterf_kernelIfEEviPT_lS3_lPiS4_iS2_S2_S2_,@function
_ZN9rocsolver6v33100L12sterf_kernelIfEEviPT_lS3_lPiS4_iS2_S2_S2_: ; @_ZN9rocsolver6v33100L12sterf_kernelIfEEviPT_lS3_lPiS4_iS2_S2_S2_
; %bb.0:
	s_clause 0x2
	s_load_b256 s[4:11], s[0:1], 0x8
	s_load_b32 s33, s[0:1], 0x0
	s_load_b128 s[12:15], s[0:1], 0x38
	s_bfe_u32 s2, ttmp6, 0x4000c
	s_and_b32 s3, ttmp6, 15
	s_add_co_i32 s2, s2, 1
	s_getreg_b32 s16, hwreg(HW_REG_IB_STS2, 6, 4)
	s_mul_i32 s2, ttmp9, s2
	s_mov_b32 s52, 0
	s_add_co_i32 s3, s3, s2
	s_cmp_eq_u32 s16, 0
	s_cselect_b32 s16, ttmp9, s3
	s_delay_alu instid0(SALU_CYCLE_1)
	s_ashr_i32 s17, s16, 31
	s_wait_kmcnt 0x0
	s_mul_u64 s[2:3], s[6:7], s[16:17]
	s_mul_u64 s[6:7], s[10:11], s[16:17]
	s_min_i32 s18, s33, s12
	s_lshl_b64 s[10:11], s[2:3], 2
	s_lshl_b64 s[2:3], s[6:7], 2
	s_cmp_lt_i32 s18, 1
	s_add_nc_u64 s[6:7], s[4:5], s[10:11]
	s_add_nc_u64 s[10:11], s[8:9], s[2:3]
	s_cbranch_scc1 .LBB1_158
; %bb.1:
	v_mov_b64_e32 v[0:1], 0xbf0000003f000000
	v_mov_b32_e32 v10, 0
	s_mul_f32 s51, s13, s13
	s_add_nc_u64 s[8:9], s[8:9], s[2:3]
	s_add_co_i32 s50, s33, -1
	s_add_nc_u64 s[18:19], s[8:9], -4
	s_add_nc_u64 s[20:21], s[6:7], 4
	s_add_nc_u64 s[22:23], s[8:9], 4
	s_mov_b32 s53, 0
	s_branch .LBB1_3
.LBB1_2:                                ;   in Loop: Header=BB1_3 Depth=1
	s_and_not1_b32 vcc_lo, exec_lo, s2
	s_cbranch_vccz .LBB1_27
.LBB1_3:                                ; =>This Loop Header: Depth=1
                                        ;     Child Loop BB1_8 Depth 2
                                        ;     Child Loop BB1_17 Depth 2
	;; [unrolled: 1-line block ×8, first 2 shown]
                                        ;       Child Loop BB1_59 Depth 3
                                        ;       Child Loop BB1_71 Depth 3
                                        ;     Child Loop BB1_114 Depth 2
                                        ;       Child Loop BB1_117 Depth 3
                                        ;       Child Loop BB1_129 Depth 3
                                        ;     Child Loop BB1_105 Depth 2
                                        ;     Child Loop BB1_109 Depth 2
	s_mov_b32 s24, s52
	s_cmp_lt_i32 s52, 1
	s_cbranch_scc1 .LBB1_5
; %bb.4:                                ;   in Loop: Header=BB1_3 Depth=1
	s_wait_xcnt 0x0
	v_mov_b32_e32 v2, s24
	global_store_b32 v2, v10, s[10:11] offset:-4 scale_offset
.LBB1_5:                                ;   in Loop: Header=BB1_3 Depth=1
	s_ashr_i32 s25, s24, 31
	s_mov_b32 s26, s24
	s_lshl_b64 s[28:29], s[24:25], 2
	s_delay_alu instid0(SALU_CYCLE_1)
	s_add_nc_u64 s[2:3], s[18:19], s[28:29]
	s_wait_xcnt 0x0
	s_add_nc_u64 s[4:5], s[20:21], s[28:29]
	s_mov_b32 s27, -1
	s_cmp_ge_i32 s26, s50
	s_mov_b32 s30, -1
                                        ; implicit-def: $sgpr52
	s_cbranch_scc1 .LBB1_8
	s_branch .LBB1_7
.LBB1_6:                                ;   in Loop: Header=BB1_8 Depth=2
	s_mov_b32 s26, s52
	s_mov_b32 s27, -1
	s_cmp_ge_i32 s26, s50
	s_mov_b32 s30, -1
                                        ; implicit-def: $sgpr52
	s_cbranch_scc1 .LBB1_8
.LBB1_7:                                ;   in Loop: Header=BB1_3 Depth=1
	s_clause 0x1
	global_load_b64 v[2:3], v10, s[4:5] offset:-4
	global_load_b32 v4, v10, s[2:3] offset:4
	s_wait_xcnt 0x0
	s_add_nc_u64 s[2:3], s[2:3], 4
	s_add_nc_u64 s[4:5], s[4:5], 4
	s_wait_loadcnt 0x1
	v_readfirstlane_b32 s27, v3
	s_bitset0_b32 s27, 31
	s_delay_alu instid0(SALU_CYCLE_1) | instskip(SKIP_1) | instid1(SALU_CYCLE_2)
	s_mul_f32 s30, s27, 0x4f800000
	s_cmp_lt_f32 s27, 0xf800000
	s_cselect_b32 s30, s30, s27
	s_delay_alu instid0(SALU_CYCLE_1) | instskip(SKIP_1) | instid1(TRANS32_DEP_1)
	v_s_sqrt_f32 s31, s30
	s_mov_b32 s35, s30
	s_add_co_i32 s34, s31, -1
	s_delay_alu instid0(SALU_CYCLE_1) | instskip(NEXT) | instid1(SALU_CYCLE_1)
	s_xor_b32 s36, s34, 0x80000000
	s_fmac_f32 s35, s36, s31
	s_mov_b32 s36, s30
	s_delay_alu instid0(SALU_CYCLE_2) | instskip(SKIP_2) | instid1(SALU_CYCLE_1)
	s_cmp_le_f32 s35, 0
	s_cselect_b32 s34, s34, s31
	s_add_co_i32 s35, s31, 1
	s_xor_b32 s37, s35, 0x80000000
	s_delay_alu instid0(SALU_CYCLE_1)
	s_fmac_f32 s36, s37, s31
	v_readfirstlane_b32 s31, v2
	s_wait_loadcnt 0x0
	v_and_b32_e32 v2, 0x7fffffff, v4
	s_cmp_gt_f32 s36, 0
	s_cselect_b32 s34, s35, s34
	s_cmp_lt_f32 s27, 0xf800000
	s_mul_f32 s27, s34, 0x37800000
	s_delay_alu instid0(SALU_CYCLE_3) | instskip(SKIP_1) | instid1(SALU_CYCLE_1)
	s_cselect_b32 s27, s27, s34
	s_bitset0_b32 s31, 31
	s_mul_f32 s34, s31, 0x4f800000
	s_cmp_lt_f32 s31, 0xf800000
	s_delay_alu instid0(SALU_CYCLE_2) | instskip(NEXT) | instid1(SALU_CYCLE_1)
	s_cselect_b32 s34, s34, s31
	v_s_sqrt_f32 s35, s34
	s_mov_b32 s37, s34
	s_delay_alu instid0(TRANS32_DEP_1) | instskip(NEXT) | instid1(SALU_CYCLE_1)
	s_add_co_i32 s36, s35, -1
	s_xor_b32 s38, s36, 0x80000000
	s_delay_alu instid0(SALU_CYCLE_1) | instskip(SKIP_1) | instid1(SALU_CYCLE_2)
	s_fmac_f32 s37, s38, s35
	s_mov_b32 s38, s34
	s_cmp_le_f32 s37, 0
	s_cselect_b32 s36, s36, s35
	s_add_co_i32 s37, s35, 1
	s_delay_alu instid0(SALU_CYCLE_1) | instskip(NEXT) | instid1(SALU_CYCLE_1)
	s_xor_b32 s39, s37, 0x80000000
	s_fmac_f32 s38, s39, s35
	v_cmp_class_f32_e64 s35, s34, 0x260
	s_delay_alu instid0(SALU_CYCLE_2) | instskip(SKIP_4) | instid1(SALU_CYCLE_2)
	s_cmp_gt_f32 s38, 0
	s_cselect_b32 s36, s37, s36
	s_cmp_lt_f32 s31, 0xf800000
	s_mul_f32 s31, s36, 0x37800000
	v_cmp_class_f32_e64 s37, s30, 0x260
	s_cselect_b32 s31, s31, s36
	s_and_b32 s35, s35, exec_lo
	s_cselect_b32 s31, s34, s31
	s_add_co_i32 s52, s26, 1
	s_and_b32 s34, s37, exec_lo
	s_cselect_b32 s27, s30, s27
	s_delay_alu instid0(SALU_CYCLE_1) | instskip(NEXT) | instid1(SALU_CYCLE_3)
	s_mul_f32 s27, s31, s27
	s_mul_f32 s27, s13, s27
	s_delay_alu instid0(SALU_CYCLE_3)
	v_cmp_ge_f32_e64 s30, s27, v2
	s_mov_b32 s27, 0
.LBB1_8:                                ;   Parent Loop BB1_3 Depth=1
                                        ; =>  This Inner Loop Header: Depth=2
	s_and_not1_b32 vcc_lo, exec_lo, s30
	s_cbranch_vccnz .LBB1_6
; %bb.9:                                ;   in Loop: Header=BB1_3 Depth=1
	s_and_not1_b32 vcc_lo, exec_lo, s27
	s_mov_b32 s4, -1
	s_cbranch_vccz .LBB1_11
; %bb.10:                               ;   in Loop: Header=BB1_3 Depth=1
	global_store_b32 v10, v10, s[2:3]
	s_cbranch_execnz .LBB1_13
	s_branch .LBB1_12
.LBB1_11:                               ;   in Loop: Header=BB1_3 Depth=1
	s_and_not1_b32 vcc_lo, exec_lo, s4
	s_cbranch_vccnz .LBB1_13
.LBB1_12:                               ;   in Loop: Header=BB1_3 Depth=1
	s_max_i32 s26, s24, s50
	s_delay_alu instid0(SALU_CYCLE_1)
	s_add_co_i32 s52, s26, 1
.LBB1_13:                               ;   in Loop: Header=BB1_3 Depth=1
	s_mov_b32 s35, -1
	s_cmp_lg_u32 s26, s24
	s_wait_xcnt 0x0
	s_mov_b32 s2, -1
                                        ; implicit-def: $sgpr30_sgpr31
                                        ; implicit-def: $vgpr2
                                        ; implicit-def: $sgpr34
                                        ; implicit-def: $sgpr54
	s_cbranch_scc0 .LBB1_21
; %bb.14:                               ;   in Loop: Header=BB1_3 Depth=1
	v_mov_b32_e32 v2, s26
	global_load_b32 v2, v2, s[6:7] scale_offset
	s_wait_loadcnt 0x0
	v_readfirstlane_b32 s2, v2
	s_and_b32 s54, s2, 0x7fffffff
	s_cmp_gt_i32 s26, s24
	s_cselect_b32 s34, -1, 0
	s_cmp_le_i32 s26, s24
	s_cbranch_scc1 .LBB1_25
; %bb.15:                               ;   in Loop: Header=BB1_3 Depth=1
	s_sub_co_i32 s4, s26, s24
	s_mov_b32 s27, -1
	s_cmp_lt_u32 s4, 2
	s_cbranch_scc1 .LBB1_22
; %bb.16:                               ;   in Loop: Header=BB1_3 Depth=1
	v_dual_mov_b32 v5, s54 :: v_dual_mov_b32 v6, s54
	s_and_b32 s3, s4, -2
	s_mov_b32 s30, 0
	s_add_co_i32 s27, s3, -2
.LBB1_17:                               ;   Parent Loop BB1_3 Depth=1
                                        ; =>  This Inner Loop Header: Depth=2
	s_mov_b32 s5, s30
	s_add_co_i32 s30, s24, s30
	v_dual_mov_b32 v3, v6 :: v_dual_mov_b32 v4, v5
	s_ashr_i32 s31, s30, 31
	s_delay_alu instid0(SALU_CYCLE_1) | instskip(NEXT) | instid1(SALU_CYCLE_1)
	s_lshl_b64 s[30:31], s[30:31], 2
	s_add_nc_u64 s[36:37], s[10:11], s[30:31]
	s_add_nc_u64 s[30:31], s[6:7], s[30:31]
	s_clause 0x1
	global_load_b64 v[8:9], v10, s[36:37]
	global_load_b64 v[12:13], v10, s[30:31]
	s_wait_xcnt 0x0
	s_add_co_i32 s30, s5, 2
	s_cmp_lg_u32 s27, s5
	s_cselect_b32 s31, -1, 0
	s_wait_loadcnt 0x1
	v_max_num_f32_e64 v6, |v9|, |v9|
	s_wait_loadcnt 0x0
	v_max_num_f32_e64 v7, |v13|, |v13|
	v_max_num_f32_e64 v8, |v8|, |v8|
	;; [unrolled: 1-line block ×3, first 2 shown]
	v_max_num_f32_e32 v5, v3, v3
	s_delay_alu instid0(VALU_DEP_2) | instskip(NEXT) | instid1(VALU_DEP_1)
	v_dual_max_num_f32 v6, v7, v6 :: v_dual_max_num_f32 v7, v9, v8
	v_cmp_u_f32_e32 vcc_lo, v6, v6
	v_cndmask_b32_e64 v8, 0, 1, vcc_lo
	s_delay_alu instid0(VALU_DEP_3) | instskip(NEXT) | instid1(VALU_DEP_2)
	v_cmp_u_f32_e32 vcc_lo, v7, v7
	v_readfirstlane_b32 s2, v8
	v_cndmask_b32_e64 v9, 0, 1, vcc_lo
	v_dual_max_num_f32 v8, v4, v4 :: v_dual_max_num_f32 v6, v5, v6
	s_lshl_b32 s2, s2, 1
	s_delay_alu instid0(VALU_DEP_2) | instskip(NEXT) | instid1(VALU_DEP_2)
	v_readfirstlane_b32 s36, v9
	v_max_num_f32_e32 v5, v8, v7
	s_or_b32 s2, s36, s2
	s_delay_alu instid0(SALU_CYCLE_1) | instskip(NEXT) | instid1(SALU_CYCLE_1)
	s_and_b32 s36, s2, 3
	s_cmp_lg_u32 s36, 0
	s_cselect_b32 s2, -1, 0
	s_cmp_eq_u32 s36, 0
	s_cselect_b32 s36, -1, 0
	s_delay_alu instid0(SALU_CYCLE_1) | instskip(NEXT) | instid1(SALU_CYCLE_1)
	s_and_b32 s31, s36, s31
	s_and_b32 vcc_lo, exec_lo, s31
	s_cbranch_vccnz .LBB1_17
; %bb.18:                               ;   in Loop: Header=BB1_3 Depth=1
	v_dual_cndmask_b32 v4, v5, v4, s2 :: v_dual_cndmask_b32 v3, v6, v3, s2
	s_xor_b32 s27, s2, -1
	s_cmp_eq_u32 s4, s3
                                        ; implicit-def: $sgpr30_sgpr31
	s_cselect_b32 s4, -1, 0
	s_delay_alu instid0(VALU_DEP_1) | instskip(SKIP_3) | instid1(VALU_DEP_1)
	v_dual_max_num_f32 v4, v4, v4 :: v_dual_max_num_f32 v3, v3, v3
	s_and_b32 s4, s4, s27
	s_mov_b32 s27, 0
	s_and_b32 vcc_lo, exec_lo, s4
	v_readfirstlane_b32 s36, v4
	v_readfirstlane_b32 s37, v3
                                        ; implicit-def: $sgpr4
	s_cbranch_vccnz .LBB1_20
; %bb.19:                               ;   in Loop: Header=BB1_3 Depth=1
	s_and_b32 s2, s2, exec_lo
	s_cselect_b32 s2, s5, s3
	s_mov_b32 s27, -1
	s_add_co_i32 s4, s24, s2
	s_delay_alu instid0(SALU_CYCLE_1) | instskip(NEXT) | instid1(SALU_CYCLE_1)
	s_ashr_i32 s5, s4, 31
	s_lshl_b64 s[30:31], s[4:5], 2
.LBB1_20:                               ;   in Loop: Header=BB1_3 Depth=1
	s_max_num_f32 s54, s36, s37
	s_and_b32 vcc_lo, exec_lo, s27
	s_cbranch_vccnz .LBB1_23
	s_branch .LBB1_25
.LBB1_21:                               ;   in Loop: Header=BB1_3 Depth=1
	s_and_b32 vcc_lo, exec_lo, s2
	s_mov_b32 s2, -1
	s_cbranch_vccz .LBB1_2
	s_branch .LBB1_26
.LBB1_22:                               ;   in Loop: Header=BB1_3 Depth=1
	s_mov_b32 s4, s24
	s_mov_b64 s[30:31], s[28:29]
	s_and_b32 vcc_lo, exec_lo, s27
	s_cbranch_vccz .LBB1_25
.LBB1_23:                               ;   in Loop: Header=BB1_3 Depth=1
	s_add_nc_u64 s[2:3], s[6:7], s[30:31]
	s_add_nc_u64 s[30:31], s[8:9], s[30:31]
.LBB1_24:                               ;   Parent Loop BB1_3 Depth=1
                                        ; =>  This Inner Loop Header: Depth=2
	s_clause 0x1
	global_load_b32 v3, v10, s[2:3]
	global_load_b32 v4, v10, s[30:31]
	s_add_co_i32 s4, s4, 1
	s_wait_xcnt 0x1
	s_add_nc_u64 s[2:3], s[2:3], 4
	s_cmp_lt_i32 s4, s26
	s_wait_xcnt 0x0
	s_add_nc_u64 s[30:31], s[30:31], 4
	s_wait_loadcnt 0x0
	v_max3_num_f32 v3, s54, |v3|, |v4|
	s_delay_alu instid0(VALU_DEP_1)
	v_readfirstlane_b32 s54, v3
	s_cbranch_scc1 .LBB1_24
.LBB1_25:                               ;   in Loop: Header=BB1_3 Depth=1
	s_ashr_i32 s27, s26, 31
	s_delay_alu instid0(SALU_CYCLE_1) | instskip(SKIP_3) | instid1(SALU_CYCLE_1)
	s_lshl_b64 s[2:3], s[26:27], 2
	s_cmp_eq_f32 s54, 0
	s_add_nc_u64 s[30:31], s[6:7], s[2:3]
	s_cselect_b32 s2, -1, 0
	s_and_b32 vcc_lo, exec_lo, s2
	s_mov_b32 s2, -1
	s_cbranch_vccz .LBB1_2
.LBB1_26:                               ;   in Loop: Header=BB1_3 Depth=1
	s_cmp_ge_i32 s52, s33
	s_mov_b32 s35, 0
	s_cselect_b32 s2, -1, 0
	s_branch .LBB1_2
.LBB1_27:                               ;   in Loop: Header=BB1_3 Depth=1
	s_and_b32 vcc_lo, exec_lo, s35
	s_mov_b32 s2, -1
                                        ; implicit-def: $sgpr55
	s_cbranch_vccz .LBB1_111
; %bb.28:                               ;   in Loop: Header=BB1_3 Depth=1
	s_cmp_gt_f32 s54, s15
	s_cselect_b32 s27, -1, 0
	s_cmp_ngt_f32 s54, s15
	s_cbranch_scc0 .LBB1_34
; %bb.29:                               ;   in Loop: Header=BB1_3 Depth=1
	s_cmp_lt_f32 s54, s14
	s_cbranch_scc0 .LBB1_35
; %bb.30:                               ;   in Loop: Header=BB1_3 Depth=1
	v_div_scale_f32 v3, null, s14, s14, s54
	v_div_scale_f32 v6, vcc_lo, s54, s14, s54
	s_mov_b32 s2, 0
	v_rcp_f32_e32 v4, v3
	v_nop
	v_xor_b32_e32 v3, 0x80000000, v3
	s_delay_alu instid0(TRANS32_DEP_1) | instid1(VALU_DEP_1)
	v_fma_f32 v5, v3, v4, 1.0
	s_delay_alu instid0(VALU_DEP_1) | instskip(NEXT) | instid1(VALU_DEP_1)
	v_fmac_f32_e32 v4, v5, v4
	v_mul_f32_e32 v5, v6, v4
	s_delay_alu instid0(VALU_DEP_1) | instskip(NEXT) | instid1(VALU_DEP_1)
	v_fma_f32 v7, v3, v5, v6
	v_fmac_f32_e32 v5, v7, v4
	s_delay_alu instid0(VALU_DEP_1) | instskip(NEXT) | instid1(VALU_DEP_1)
	v_fmac_f32_e32 v6, v3, v5
	v_div_fmas_f32 v3, v6, v4, v5
	s_and_b32 vcc_lo, exec_lo, s34
	s_delay_alu instid0(VALU_DEP_1) | instskip(NEXT) | instid1(VALU_DEP_1)
	v_div_fixup_f32 v3, v3, s14, s54
	v_mul_f32_e32 v4, v2, v3
	global_store_b32 v10, v4, s[30:31]
	s_cbranch_vccz .LBB1_35
; %bb.31:                               ;   in Loop: Header=BB1_3 Depth=1
	s_add_nc_u64 s[2:3], s[6:7], s[28:29]
	s_add_nc_u64 s[4:5], s[8:9], s[28:29]
	s_mov_b32 s35, s24
.LBB1_32:                               ;   Parent Loop BB1_3 Depth=1
                                        ; =>  This Inner Loop Header: Depth=2
	global_load_b32 v4, v10, s[2:3]
	s_add_co_i32 s35, s35, 1
	s_delay_alu instid0(SALU_CYCLE_1)
	s_cmp_lt_i32 s35, s26
	s_wait_loadcnt 0x0
	v_mul_f32_e32 v4, v3, v4
	s_clause 0x1
	global_store_b32 v10, v4, s[2:3]
	global_load_b32 v4, v10, s[4:5]
	s_add_nc_u64 s[2:3], s[2:3], 4
	s_wait_loadcnt 0x0
	v_mul_f32_e32 v4, v3, v4
	global_store_b32 v10, v4, s[4:5]
	s_wait_xcnt 0x0
	s_add_nc_u64 s[4:5], s[4:5], 4
	s_cbranch_scc1 .LBB1_32
; %bb.33:                               ;   in Loop: Header=BB1_3 Depth=1
	s_mov_b32 s2, -1
	s_branch .LBB1_40
.LBB1_34:                               ;   in Loop: Header=BB1_3 Depth=1
	s_mov_b32 s2, 0
	s_cbranch_execnz .LBB1_36
	s_branch .LBB1_40
.LBB1_35:                               ;   in Loop: Header=BB1_3 Depth=1
	s_branch .LBB1_40
.LBB1_36:                               ;   in Loop: Header=BB1_3 Depth=1
	v_div_scale_f32 v3, null, s15, s15, s54
	v_div_scale_f32 v6, vcc_lo, s54, s15, s54
	s_wait_xcnt 0x0
	s_delay_alu instid0(VALU_DEP_2)
	v_rcp_f32_e32 v4, v3
	v_nop
	v_xor_b32_e32 v3, 0x80000000, v3
	s_delay_alu instid0(TRANS32_DEP_1) | instid1(VALU_DEP_1)
	v_fma_f32 v5, v3, v4, 1.0
	s_delay_alu instid0(VALU_DEP_1) | instskip(NEXT) | instid1(VALU_DEP_1)
	v_fmac_f32_e32 v4, v5, v4
	v_mul_f32_e32 v5, v6, v4
	s_delay_alu instid0(VALU_DEP_1) | instskip(NEXT) | instid1(VALU_DEP_1)
	v_fma_f32 v7, v3, v5, v6
	v_fmac_f32_e32 v5, v7, v4
	s_delay_alu instid0(VALU_DEP_1) | instskip(NEXT) | instid1(VALU_DEP_1)
	v_fmac_f32_e32 v6, v3, v5
	v_div_fmas_f32 v3, v6, v4, v5
	s_and_b32 vcc_lo, exec_lo, s34
	s_delay_alu instid0(VALU_DEP_1) | instskip(NEXT) | instid1(VALU_DEP_1)
	v_div_fixup_f32 v3, v3, s15, s54
	v_mul_f32_e32 v2, v2, v3
	global_store_b32 v10, v2, s[30:31]
	s_cbranch_vccz .LBB1_40
; %bb.37:                               ;   in Loop: Header=BB1_3 Depth=1
	s_add_nc_u64 s[2:3], s[6:7], s[28:29]
	s_add_nc_u64 s[4:5], s[8:9], s[28:29]
	s_mov_b32 s35, s24
.LBB1_38:                               ;   Parent Loop BB1_3 Depth=1
                                        ; =>  This Inner Loop Header: Depth=2
	global_load_b32 v2, v10, s[2:3]
	s_add_co_i32 s35, s35, 1
	s_delay_alu instid0(SALU_CYCLE_1)
	s_cmp_ge_i32 s35, s26
	s_wait_loadcnt 0x0
	v_mul_f32_e32 v2, v3, v2
	s_clause 0x1
	global_store_b32 v10, v2, s[2:3]
	global_load_b32 v2, v10, s[4:5]
	s_add_nc_u64 s[2:3], s[2:3], 4
	s_wait_loadcnt 0x0
	v_mul_f32_e32 v2, v3, v2
	global_store_b32 v10, v2, s[4:5]
	s_wait_xcnt 0x0
	s_add_nc_u64 s[4:5], s[4:5], 4
	s_cbranch_scc0 .LBB1_38
; %bb.39:                               ;   in Loop: Header=BB1_3 Depth=1
	s_mov_b32 s2, -1
.LBB1_40:                               ;   in Loop: Header=BB1_3 Depth=1
	s_wait_xcnt 0x0
	v_cndmask_b32_e64 v2, 0, 1, s34
	s_and_b32 vcc_lo, exec_lo, s2
	s_delay_alu instid0(VALU_DEP_1)
	v_cmp_ne_u32_e64 s2, 1, v2
	s_cbranch_vccz .LBB1_50
; %bb.41:                               ;   in Loop: Header=BB1_3 Depth=1
	s_and_b32 vcc_lo, exec_lo, s2
	s_cbranch_vccnz .LBB1_50
; %bb.42:                               ;   in Loop: Header=BB1_3 Depth=1
	s_add_co_i32 s3, s24, 1
	s_mov_b32 s5, -1
	s_max_i32 s3, s26, s3
	s_mov_b32 s4, s24
	s_sub_co_i32 s3, s3, s24
	s_mov_b64 s[34:35], s[28:29]
	s_cmp_lt_u32 s3, 2
	s_cbranch_scc1 .LBB1_47
; %bb.43:                               ;   in Loop: Header=BB1_3 Depth=1
	s_and_b32 s36, s3, -2
	s_mov_b32 s4, s24
	s_mov_b32 s34, s36
.LBB1_44:                               ;   Parent Loop BB1_3 Depth=1
                                        ; =>  This Inner Loop Header: Depth=2
	s_ashr_i32 s5, s4, 31
	s_add_co_i32 s34, s34, -2
	s_wait_xcnt 0x0
	s_lshl_b64 s[38:39], s[4:5], 2
	s_add_co_i32 s4, s4, 2
	s_add_nc_u64 s[38:39], s[10:11], s[38:39]
	s_cmp_lg_u32 s34, 0
	global_load_b64 v[2:3], v10, s[38:39]
	s_wait_loadcnt 0x0
	v_pk_mul_f32 v[2:3], v[2:3], v[2:3]
	global_store_b64 v10, v[2:3], s[38:39]
	s_cbranch_scc1 .LBB1_44
; %bb.45:                               ;   in Loop: Header=BB1_3 Depth=1
	s_cmp_eq_u32 s3, s36
	s_mov_b32 s5, 0
                                        ; implicit-def: $sgpr4
                                        ; implicit-def: $sgpr34_sgpr35
	s_cbranch_scc1 .LBB1_47
; %bb.46:                               ;   in Loop: Header=BB1_3 Depth=1
	s_add_co_i32 s4, s24, s36
	s_delay_alu instid0(SALU_CYCLE_1) | instskip(NEXT) | instid1(SALU_CYCLE_1)
	s_ashr_i32 s5, s4, 31
	s_lshl_b64 s[34:35], s[4:5], 2
	s_mov_b32 s5, -1
.LBB1_47:                               ;   in Loop: Header=BB1_3 Depth=1
	s_delay_alu instid0(SALU_CYCLE_1)
	s_and_b32 vcc_lo, exec_lo, s5
	s_cbranch_vccz .LBB1_50
; %bb.48:                               ;   in Loop: Header=BB1_3 Depth=1
	s_add_nc_u64 s[34:35], s[8:9], s[34:35]
.LBB1_49:                               ;   Parent Loop BB1_3 Depth=1
                                        ; =>  This Inner Loop Header: Depth=2
	global_load_b32 v2, v10, s[34:35]
	s_add_co_i32 s4, s4, 1
	s_delay_alu instid0(SALU_CYCLE_1)
	s_cmp_lt_i32 s4, s26
	s_wait_loadcnt 0x0
	v_mul_f32_e32 v2, v2, v2
	global_store_b32 v10, v2, s[34:35]
	s_wait_xcnt 0x0
	s_add_nc_u64 s[34:35], s[34:35], 4
	s_cbranch_scc1 .LBB1_49
.LBB1_50:                               ;   in Loop: Header=BB1_3 Depth=1
	s_lshl_b64 s[4:5], s[24:25], 2
                                        ; implicit-def: $sgpr55
	s_delay_alu instid0(SALU_CYCLE_1)
	s_add_nc_u64 s[4:5], s[6:7], s[4:5]
	s_clause 0x1
	global_load_b32 v2, v10, s[30:31]
	global_load_b32 v3, v10, s[4:5]
	s_wait_loadcnt 0x1
	v_readfirstlane_b32 s3, v2
	s_wait_loadcnt 0x0
	v_readfirstlane_b32 s4, v3
	s_bitset0_b32 s3, 31
	s_bitset0_b32 s4, 31
	s_delay_alu instid0(SALU_CYCLE_1)
	s_cmp_lt_f32 s3, s4
	s_mov_b32 s4, -1
	s_cselect_b32 s25, s24, s26
	s_cselect_b32 s34, s26, s24
	s_cmp_lt_i32 s53, s12
	s_cselect_b32 s3, -1, 0
	s_cmp_lt_i32 s25, s34
	v_cndmask_b32_e64 v2, 0, 1, s3
	s_delay_alu instid0(VALU_DEP_1)
	v_cmp_ne_u32_e64 s3, 1, v2
	s_cbranch_scc1 .LBB1_100
; %bb.51:                               ;   in Loop: Header=BB1_3 Depth=1
	s_and_b32 vcc_lo, exec_lo, s3
	s_mov_b32 s55, s53
	s_mov_b32 s36, s34
	s_cbranch_vccz .LBB1_56
.LBB1_52:                               ;   in Loop: Header=BB1_3 Depth=1
	s_cbranch_execz .LBB1_101
.LBB1_53:                               ;   in Loop: Header=BB1_3 Depth=1
	s_and_not1_b32 vcc_lo, exec_lo, s27
	s_cbranch_vccz .LBB1_103
	s_branch .LBB1_106
.LBB1_54:                               ;   in Loop: Header=BB1_56 Depth=2
	s_cmp_gt_i32 s36, s25
	s_cselect_b32 s4, -1, 0
	s_cmp_ge_i32 s55, s12
	s_cselect_b32 s5, -1, 0
	s_delay_alu instid0(SALU_CYCLE_1)
	s_or_b32 s5, s4, s5
.LBB1_55:                               ;   in Loop: Header=BB1_56 Depth=2
	s_delay_alu instid0(SALU_CYCLE_1)
	s_and_not1_b32 vcc_lo, exec_lo, s5
	s_cbranch_vccz .LBB1_52
.LBB1_56:                               ;   Parent Loop BB1_3 Depth=1
                                        ; =>  This Loop Header: Depth=2
                                        ;       Child Loop BB1_59 Depth 3
                                        ;       Child Loop BB1_71 Depth 3
	s_ashr_i32 s37, s36, 31
	s_wait_xcnt 0x1
	s_max_i32 s38, s25, s36
	s_wait_xcnt 0x0
	s_lshl_b64 s[42:43], s[36:37], 2
	s_mov_b32 s35, s36
	s_add_nc_u64 s[4:5], s[18:19], s[42:43]
	s_add_nc_u64 s[40:41], s[20:21], s[42:43]
	s_mov_b32 s37, -1
	s_cmp_ge_i32 s35, s25
	s_mov_b32 s44, -1
                                        ; implicit-def: $sgpr39
	s_cbranch_scc1 .LBB1_59
	s_branch .LBB1_58
.LBB1_57:                               ;   in Loop: Header=BB1_59 Depth=3
	s_mov_b32 s35, s39
	s_mov_b32 s37, -1
	s_cmp_ge_i32 s35, s25
	s_mov_b32 s44, -1
                                        ; implicit-def: $sgpr39
	s_cbranch_scc1 .LBB1_59
.LBB1_58:                               ;   in Loop: Header=BB1_56 Depth=2
	s_clause 0x1
	global_load_b64 v[2:3], v10, s[40:41] offset:-4
	global_load_b32 v4, v10, s[4:5] offset:4
	s_wait_xcnt 0x0
	s_add_nc_u64 s[4:5], s[4:5], 4
	s_add_co_i32 s39, s35, 1
	s_add_nc_u64 s[40:41], s[40:41], 4
	s_mov_b32 s37, 0
	s_wait_loadcnt 0x1
	v_mul_f32_e32 v2, v2, v3
	s_wait_loadcnt 0x0
	v_and_b32_e32 v3, 0x7fffffff, v4
	s_delay_alu instid0(VALU_DEP_2) | instskip(NEXT) | instid1(VALU_DEP_1)
	v_and_b32_e32 v2, 0x7fffffff, v2
	v_mul_f32_e32 v2, s51, v2
	s_delay_alu instid0(VALU_DEP_1)
	v_cmp_le_f32_e64 s44, v3, v2
.LBB1_59:                               ;   Parent Loop BB1_3 Depth=1
                                        ;     Parent Loop BB1_56 Depth=2
                                        ; =>    This Inner Loop Header: Depth=3
	s_delay_alu instid0(VALU_DEP_1)
	s_and_not1_b32 vcc_lo, exec_lo, s44
	s_cbranch_vccnz .LBB1_57
; %bb.60:                               ;   in Loop: Header=BB1_56 Depth=2
	s_and_not1_b32 vcc_lo, exec_lo, s37
	s_cbranch_vccz .LBB1_62
; %bb.61:                               ;   in Loop: Header=BB1_56 Depth=2
	s_mov_b32 s38, s35
	global_store_b32 v10, v10, s[4:5]
.LBB1_62:                               ;   in Loop: Header=BB1_56 Depth=2
	s_wait_xcnt 0x0
	s_add_co_i32 s4, s36, 1
	s_cmp_eq_u32 s38, s36
	s_mov_b32 s5, -1
	s_cbranch_scc1 .LBB1_77
; %bb.63:                               ;   in Loop: Header=BB1_56 Depth=2
	s_add_nc_u64 s[40:41], s[6:7], s[42:43]
	s_cmp_lg_u32 s38, s4
	global_load_b32 v2, v10, s[40:41]
	s_wait_loadcnt 0x0
	v_readfirstlane_b32 s35, v2
	s_cbranch_scc0 .LBB1_78
; %bb.64:                               ;   in Loop: Header=BB1_56 Depth=2
	s_mov_b32 s37, 0
	s_cmp_lg_u32 s55, s12
	s_mov_b32 s39, s12
	s_mov_b32 s4, 0
	s_cbranch_scc0 .LBB1_79
; %bb.65:                               ;   in Loop: Header=BB1_56 Depth=2
	s_add_nc_u64 s[44:45], s[10:11], s[42:43]
	s_clause 0x1
	global_load_b32 v2, v10, s[44:45]
	global_load_b32 v3, v10, s[40:41] offset:4
	s_wait_loadcnt 0x1
	v_readfirstlane_b32 s4, v2
	v_cmp_gt_f32_e32 vcc_lo, 0xf800000, v2
	s_mul_f32 s39, s4, 0x4f800000
	s_cmp_lt_f32 s4, 0xf800000
	s_delay_alu instid0(SALU_CYCLE_2) | instskip(NEXT) | instid1(SALU_CYCLE_1)
	s_cselect_b32 s4, s39, s4
	v_s_sqrt_f32 s39, s4
	s_mov_b32 s47, s4
	s_delay_alu instid0(TRANS32_DEP_1) | instskip(NEXT) | instid1(SALU_CYCLE_1)
	s_add_co_i32 s46, s39, -1
	s_xor_b32 s48, s46, 0x80000000
	s_delay_alu instid0(SALU_CYCLE_1) | instskip(SKIP_1) | instid1(SALU_CYCLE_2)
	s_fmac_f32 s47, s48, s39
	s_mov_b32 s48, s4
	s_cmp_le_f32 s47, 0
	s_cselect_b32 s46, s46, s39
	s_add_co_i32 s47, s39, 1
	s_delay_alu instid0(SALU_CYCLE_1) | instskip(NEXT) | instid1(SALU_CYCLE_1)
	s_xor_b32 s49, s47, 0x80000000
	s_fmac_f32 s48, s49, s39
	s_delay_alu instid0(SALU_CYCLE_3) | instskip(SKIP_1) | instid1(SALU_CYCLE_1)
	s_cmp_gt_f32 s48, 0
	s_cselect_b32 s39, s47, s46
	s_mul_f32 s46, s39, 0x37800000
	s_delay_alu instid0(SALU_CYCLE_3) | instskip(SKIP_3) | instid1(VALU_DEP_1)
	v_dual_mov_b32 v4, s38 :: v_dual_mov_b32 v5, s46
	global_load_b32 v4, v4, s[6:7] scale_offset
	v_cndmask_b32_e32 v2, s39, v5, vcc_lo
	v_cmp_class_f32_e64 s39, s4, 0x260
	v_cndmask_b32_e64 v2, v2, s4, s39
	s_wait_loadcnt 0x1
	s_delay_alu instid0(VALU_DEP_1) | instskip(NEXT) | instid1(VALU_DEP_1)
	v_dual_subrev_f32 v3, s35, v3 :: v_dual_add_f32 v5, v2, v2
	v_div_scale_f32 v6, null, v5, v5, v3
	v_div_scale_f32 v9, vcc_lo, v3, v5, v3
	s_delay_alu instid0(VALU_DEP_2)
	v_rcp_f32_e32 v7, v6
	v_nop
	v_xor_b32_e32 v6, 0x80000000, v6
	s_delay_alu instid0(TRANS32_DEP_1) | instid1(VALU_DEP_1)
	v_fma_f32 v8, v6, v7, 1.0
	s_delay_alu instid0(VALU_DEP_1) | instskip(NEXT) | instid1(VALU_DEP_1)
	v_fmac_f32_e32 v7, v8, v7
	v_mul_f32_e32 v8, v9, v7
	s_delay_alu instid0(VALU_DEP_1) | instskip(NEXT) | instid1(VALU_DEP_1)
	v_fma_f32 v11, v6, v8, v9
	v_fmac_f32_e32 v8, v11, v7
	s_delay_alu instid0(VALU_DEP_1) | instskip(NEXT) | instid1(VALU_DEP_1)
	v_fmac_f32_e32 v9, v6, v8
	v_div_fmas_f32 v6, v9, v7, v8
	s_delay_alu instid0(VALU_DEP_1) | instskip(NEXT) | instid1(VALU_DEP_1)
	v_div_fixup_f32 v3, v6, v5, v3
	v_readfirstlane_b32 s4, v3
	v_cmp_nle_f32_e32 vcc_lo, 0, v3
	s_fmaak_f32 s4, s4, s4, 0x3f800000
	s_delay_alu instid0(SALU_CYCLE_3) | instskip(SKIP_1) | instid1(SALU_CYCLE_2)
	s_mul_f32 s39, s4, 0x4f800000
	s_cmp_lt_f32 s4, 0xf800000
	s_cselect_b32 s39, s39, s4
	s_delay_alu instid0(SALU_CYCLE_1) | instskip(SKIP_1) | instid1(TRANS32_DEP_1)
	v_s_sqrt_f32 s46, s39
	s_mov_b32 s48, s39
	s_add_co_i32 s47, s46, -1
	s_delay_alu instid0(SALU_CYCLE_1) | instskip(NEXT) | instid1(SALU_CYCLE_1)
	s_xor_b32 s49, s47, 0x80000000
	s_fmac_f32 s48, s49, s46
	s_mov_b32 s49, s39
	s_delay_alu instid0(SALU_CYCLE_2) | instskip(SKIP_2) | instid1(SALU_CYCLE_1)
	s_cmp_le_f32 s48, 0
	s_cselect_b32 s47, s47, s46
	s_add_co_i32 s48, s46, 1
	s_xor_b32 s56, s48, 0x80000000
	s_delay_alu instid0(SALU_CYCLE_1) | instskip(SKIP_1) | instid1(SALU_CYCLE_2)
	s_fmac_f32 s49, s56, s46
	v_cmp_class_f32_e64 s46, s39, 0x260
	s_cmp_gt_f32 s49, 0
	s_cselect_b32 s47, s48, s47
	s_cmp_lt_f32 s4, 0xf800000
	s_mul_f32 s4, s47, 0x37800000
	s_delay_alu instid0(SALU_CYCLE_3) | instskip(SKIP_2) | instid1(SALU_CYCLE_1)
	s_cselect_b32 s4, s4, s47
	s_and_b32 s46, s46, exec_lo
	s_cselect_b32 s4, s39, s4
	s_or_b32 s39, s4, 0x80000000
	s_bitset0_b32 s4, 31
	v_mov_b32_e32 v5, s39
	s_cmp_le_i32 s38, s36
	s_delay_alu instid0(VALU_DEP_1) | instskip(NEXT) | instid1(VALU_DEP_1)
	v_cndmask_b32_e32 v5, s4, v5, vcc_lo
	v_add_f32_e32 v3, v3, v5
	s_delay_alu instid0(VALU_DEP_1) | instskip(SKIP_1) | instid1(VALU_DEP_2)
	v_div_scale_f32 v5, null, v3, v3, v2
	v_div_scale_f32 v8, vcc_lo, v2, v3, v2
	v_rcp_f32_e32 v6, v5
	v_nop
	v_xor_b32_e32 v5, 0x80000000, v5
	s_delay_alu instid0(TRANS32_DEP_1) | instid1(VALU_DEP_1)
	v_fma_f32 v7, v5, v6, 1.0
	s_delay_alu instid0(VALU_DEP_1) | instskip(NEXT) | instid1(VALU_DEP_1)
	v_fmac_f32_e32 v6, v7, v6
	v_mul_f32_e32 v7, v8, v6
	s_delay_alu instid0(VALU_DEP_1) | instskip(NEXT) | instid1(VALU_DEP_1)
	v_fma_f32 v9, v5, v7, v8
	v_fmac_f32_e32 v7, v9, v6
	s_delay_alu instid0(VALU_DEP_1) | instskip(NEXT) | instid1(VALU_DEP_1)
	v_fmac_f32_e32 v8, v5, v7
	v_div_fmas_f32 v5, v8, v6, v7
	s_delay_alu instid0(VALU_DEP_1) | instskip(NEXT) | instid1(VALU_DEP_1)
	v_div_fixup_f32 v2, v5, v3, v2
	v_dual_mov_b32 v3, 0 :: v_dual_sub_f32 v11, s35, v2
	s_wait_loadcnt 0x0
	s_delay_alu instid0(VALU_DEP_1) | instskip(NEXT) | instid1(VALU_DEP_1)
	v_sub_f32_e32 v9, v4, v11
	v_mul_f32_e32 v2, v9, v9
	s_cbranch_scc1 .LBB1_85
; %bb.66:                               ;   in Loop: Header=BB1_56 Depth=2
	s_ashr_i32 s39, s38, 31
	s_delay_alu instid0(SALU_CYCLE_1) | instskip(NEXT) | instid1(SALU_CYCLE_1)
	s_lshl_b64 s[46:47], s[38:39], 2
	s_add_nc_u64 s[48:49], s[10:11], s[46:47]
	s_add_nc_u64 s[46:47], s[6:7], s[46:47]
	s_clause 0x1
	global_load_b32 v12, v10, s[48:49] offset:-4
	global_load_b32 v13, v10, s[46:47] offset:-4
	s_wait_loadcnt 0x1
	s_wait_xcnt 0x2
	v_add_f32_e32 v4, v2, v12
	s_delay_alu instid0(VALU_DEP_1) | instskip(NEXT) | instid1(VALU_DEP_1)
	v_div_scale_f32 v3, null, v4, v4, v12
	v_rcp_f32_e32 v6, v3
	v_nop
	v_xor_b32_e32 v3, 0x80000000, v3
	s_delay_alu instid0(TRANS32_DEP_1) | instid1(VALU_DEP_1)
	v_fma_f32 v8, v3, v6, 1.0
	s_delay_alu instid0(VALU_DEP_1) | instskip(SKIP_3) | instid1(VALU_DEP_3)
	v_fmac_f32_e32 v6, v8, v6
	v_div_scale_f32 v5, null, v4, v4, v2
	v_div_scale_f32 v15, vcc_lo, v12, v4, v12
	v_div_scale_f32 v8, s4, v2, v4, v2
	v_rcp_f32_e32 v7, v5
	v_nop
	v_xor_b32_e32 v5, 0x80000000, v5
	s_delay_alu instid0(TRANS32_DEP_1) | instid1(VALU_DEP_1)
	v_fma_f32 v14, v5, v7, 1.0
	s_delay_alu instid0(VALU_DEP_1) | instskip(NEXT) | instid1(VALU_DEP_1)
	v_dual_fmac_f32 v7, v14, v7 :: v_dual_mul_f32 v14, v15, v6
	v_dual_mul_f32 v16, v8, v7 :: v_dual_fma_f32 v17, v3, v14, v15
	s_delay_alu instid0(VALU_DEP_1) | instskip(NEXT) | instid1(VALU_DEP_1)
	v_fmac_f32_e32 v14, v17, v6
	v_dual_fma_f32 v18, v5, v16, v8 :: v_dual_fmac_f32 v15, v3, v14
	s_delay_alu instid0(VALU_DEP_1) | instskip(NEXT) | instid1(VALU_DEP_2)
	v_fmac_f32_e32 v16, v18, v7
	v_div_fmas_f32 v3, v15, v6, v14
	s_mov_b32 vcc_lo, s4
	s_delay_alu instid0(VALU_DEP_1) | instskip(NEXT) | instid1(VALU_DEP_3)
	v_div_fixup_f32 v3, v3, v4, v12
	v_fmac_f32_e32 v8, v5, v16
	s_delay_alu instid0(VALU_DEP_1) | instskip(SKIP_2) | instid1(VALU_DEP_2)
	v_div_fmas_f32 v5, v8, v7, v16
	s_wait_loadcnt 0x0
	v_sub_f32_e32 v8, v13, v11
	v_div_fixup_f32 v4, v5, v4, v2
	v_dual_mov_b32 v5, v3 :: v_dual_mul_f32 v2, v9, v3
	s_delay_alu instid0(VALU_DEP_2) | instskip(NEXT) | instid1(VALU_DEP_2)
	v_cmp_eq_f32_e32 vcc_lo, 0, v4
	v_pk_fma_f32 v[6:7], v[8:9], v[4:5], v[2:3] op_sel_hi:[1,1,0] neg_lo:[0,0,1] neg_hi:[0,0,1]
	s_delay_alu instid0(VALU_DEP_1) | instskip(NEXT) | instid1(VALU_DEP_1)
	v_sub_f32_e32 v2, v13, v6
	v_add_f32_e32 v2, v9, v2
	global_store_b32 v10, v2, s[46:47]
	s_cbranch_vccnz .LBB1_68
; %bb.67:                               ;   in Loop: Header=BB1_56 Depth=2
	s_wait_xcnt 0x0
	v_mul_f32_e32 v2, v6, v6
	s_delay_alu instid0(VALU_DEP_1) | instskip(NEXT) | instid1(VALU_DEP_1)
	v_div_scale_f32 v5, null, v4, v4, v2
	v_rcp_f32_e32 v7, v5
	v_nop
	v_xor_b32_e32 v5, 0x80000000, v5
	s_delay_alu instid0(TRANS32_DEP_1) | instid1(VALU_DEP_1)
	v_fma_f32 v8, v5, v7, 1.0
	s_delay_alu instid0(VALU_DEP_1) | instskip(SKIP_1) | instid1(VALU_DEP_1)
	v_fmac_f32_e32 v7, v8, v7
	v_div_scale_f32 v8, vcc_lo, v2, v4, v2
	v_mul_f32_e32 v9, v8, v7
	s_delay_alu instid0(VALU_DEP_1) | instskip(NEXT) | instid1(VALU_DEP_1)
	v_fma_f32 v12, v5, v9, v8
	v_fmac_f32_e32 v9, v12, v7
	s_delay_alu instid0(VALU_DEP_1) | instskip(NEXT) | instid1(VALU_DEP_1)
	v_fmac_f32_e32 v8, v5, v9
	v_div_fmas_f32 v5, v8, v7, v9
	s_delay_alu instid0(VALU_DEP_1)
	v_div_fixup_f32 v12, v5, v4, v2
.LBB1_68:                               ;   in Loop: Header=BB1_56 Depth=2
	s_add_co_i32 s4, s38, -1
	s_delay_alu instid0(SALU_CYCLE_1)
	s_cmp_le_i32 s4, s36
	s_cbranch_scc1 .LBB1_84
; %bb.69:                               ;   in Loop: Header=BB1_56 Depth=2
	s_wait_xcnt 0x0
	s_add_co_i32 s46, s38, -2
	v_mov_b32_e32 v9, v6
	s_ashr_i32 s47, s46, 31
	s_mov_b32 s39, -1
	s_lshl_b64 s[48:49], s[46:47], 2
	s_delay_alu instid0(SALU_CYCLE_1)
	s_add_nc_u64 s[46:47], s[20:21], s[48:49]
	s_add_nc_u64 s[48:49], s[22:23], s[48:49]
	global_load_b32 v5, v10, s[48:49] offset:-4
	s_cmp_eq_u32 s39, 0
	s_wait_loadcnt 0x0
	v_add_f32_e32 v2, v12, v5
	s_cbranch_scc1 .LBB1_71
.LBB1_70:                               ;   in Loop: Header=BB1_56 Depth=2
	s_delay_alu instid0(VALU_DEP_1)
	v_mul_f32_e32 v3, v3, v2
	global_store_b32 v10, v3, s[48:49]
.LBB1_71:                               ;   Parent Loop BB1_3 Depth=1
                                        ;     Parent Loop BB1_56 Depth=2
                                        ; =>    This Inner Loop Header: Depth=3
	global_load_b32 v13, v10, s[46:47] offset:-4
	s_wait_xcnt 0x1
	v_div_scale_f32 v3, null, v2, v2, v5
	v_div_scale_f32 v6, null, v2, v2, v12
	v_div_scale_f32 v16, vcc_lo, v5, v2, v5
	s_delay_alu instid0(VALU_DEP_3)
	v_rcp_f32_e32 v7, v3
	v_nop
	v_xor_b32_e32 v3, 0x80000000, v3
	v_rcp_f32_e32 v8, v6
	v_nop
	v_xor_b32_e32 v6, 0x80000000, v6
	s_delay_alu instid0(TRANS32_DEP_2) | instid1(VALU_DEP_3)
	v_fma_f32 v14, v3, v7, 1.0
	s_delay_alu instid0(TRANS32_DEP_1) | instid1(VALU_DEP_2)
	v_fma_f32 v15, v6, v8, 1.0
	s_delay_alu instid0(VALU_DEP_2) | instskip(SKIP_1) | instid1(VALU_DEP_2)
	v_fmac_f32_e32 v7, v14, v7
	v_div_scale_f32 v14, s4, v12, v2, v12
	v_dual_fmac_f32 v8, v15, v8 :: v_dual_mul_f32 v15, v16, v7
	s_delay_alu instid0(VALU_DEP_1) | instskip(NEXT) | instid1(VALU_DEP_1)
	v_dual_mul_f32 v17, v14, v8 :: v_dual_fma_f32 v18, v3, v15, v16
	v_fma_f32 v19, v6, v17, v14
	s_delay_alu instid0(VALU_DEP_1) | instskip(NEXT) | instid1(VALU_DEP_1)
	v_dual_fmac_f32 v15, v18, v7 :: v_dual_fmac_f32 v17, v19, v8
	v_dual_fmac_f32 v16, v3, v15 :: v_dual_fmac_f32 v14, v6, v17
	s_delay_alu instid0(VALU_DEP_1) | instskip(SKIP_1) | instid1(VALU_DEP_2)
	v_div_fmas_f32 v3, v16, v7, v15
	s_mov_b32 vcc_lo, s4
	v_div_fmas_f32 v6, v14, v8, v17
	s_delay_alu instid0(VALU_DEP_2) | instskip(NEXT) | instid1(VALU_DEP_2)
	v_div_fixup_f32 v3, v3, v2, v5
	v_div_fixup_f32 v2, v6, v2, v12
	s_delay_alu instid0(VALU_DEP_2) | instskip(NEXT) | instid1(VALU_DEP_2)
	v_mul_f32_e32 v6, v9, v3
	v_cmp_eq_f32_e32 vcc_lo, 0, v2
	s_and_b32 vcc_lo, exec_lo, vcc_lo
	s_wait_loadcnt 0x0
	v_sub_f32_e32 v8, v13, v11
	s_delay_alu instid0(VALU_DEP_1) | instskip(NEXT) | instid1(VALU_DEP_1)
	v_pk_fma_f32 v[6:7], v[8:9], v[2:3], v[6:7] op_sel_hi:[1,1,0] neg_lo:[0,0,1] neg_hi:[0,0,1]
	v_sub_f32_e32 v7, v13, v6
	s_delay_alu instid0(VALU_DEP_1)
	v_add_f32_e32 v7, v9, v7
	global_store_b32 v10, v7, s[46:47]
	s_cbranch_vccz .LBB1_76
; %bb.72:                               ;   in Loop: Header=BB1_71 Depth=3
	v_mul_f32_e32 v12, v4, v5
	s_cbranch_execnz .LBB1_74
.LBB1_73:                               ;   in Loop: Header=BB1_71 Depth=3
	v_mul_f32_e32 v4, v6, v6
	s_delay_alu instid0(VALU_DEP_1) | instskip(SKIP_1) | instid1(VALU_DEP_1)
	v_div_scale_f32 v5, null, v2, v2, v4
	s_wait_xcnt 0x0
	v_rcp_f32_e32 v7, v5
	v_nop
	v_xor_b32_e32 v5, 0x80000000, v5
	s_delay_alu instid0(TRANS32_DEP_1) | instid1(VALU_DEP_1)
	v_fma_f32 v8, v5, v7, 1.0
	s_delay_alu instid0(VALU_DEP_1) | instskip(SKIP_1) | instid1(VALU_DEP_1)
	v_fmac_f32_e32 v7, v8, v7
	v_div_scale_f32 v8, vcc_lo, v4, v2, v4
	v_mul_f32_e32 v9, v8, v7
	s_delay_alu instid0(VALU_DEP_1) | instskip(NEXT) | instid1(VALU_DEP_1)
	v_fma_f32 v12, v5, v9, v8
	v_fmac_f32_e32 v9, v12, v7
	s_delay_alu instid0(VALU_DEP_1) | instskip(NEXT) | instid1(VALU_DEP_1)
	v_fmac_f32_e32 v8, v5, v9
	v_div_fmas_f32 v5, v8, v7, v9
	s_delay_alu instid0(VALU_DEP_1)
	v_div_fixup_f32 v12, v5, v2, v4
.LBB1_74:                               ;   in Loop: Header=BB1_71 Depth=3
	s_add_co_i32 s39, s39, -1
	s_add_nc_u64 s[48:49], s[48:49], -4
	s_add_co_i32 s4, s38, s39
	s_wait_xcnt 0x0
	s_add_nc_u64 s[46:47], s[46:47], -4
	s_cmp_le_i32 s4, s36
	s_cbranch_scc1 .LBB1_84
; %bb.75:                               ;   in Loop: Header=BB1_71 Depth=3
	v_dual_mov_b32 v4, v2 :: v_dual_mov_b32 v9, v6
	global_load_b32 v5, v10, s[48:49] offset:-4
	s_cmp_eq_u32 s39, 0
	s_wait_loadcnt 0x0
	v_add_f32_e32 v2, v12, v5
	s_cbranch_scc0 .LBB1_70
	s_branch .LBB1_71
.LBB1_76:                               ;   in Loop: Header=BB1_71 Depth=3
                                        ; implicit-def: $vgpr12
	s_branch .LBB1_73
.LBB1_77:                               ;   in Loop: Header=BB1_56 Depth=2
	s_mov_b32 s36, s4
	s_cbranch_execnz .LBB1_54
	s_branch .LBB1_55
.LBB1_78:                               ;   in Loop: Header=BB1_56 Depth=2
	s_mov_b32 s37, -1
	s_mov_b32 s4, 0
                                        ; implicit-def: $sgpr39
.LBB1_79:                               ;   in Loop: Header=BB1_56 Depth=2
	s_and_b32 vcc_lo, exec_lo, s37
	s_cbranch_vccz .LBB1_86
.LBB1_80:                               ;   in Loop: Header=BB1_56 Depth=2
	s_add_nc_u64 s[42:43], s[10:11], s[42:43]
	s_wait_xcnt 0x0
	v_mov_b32_e32 v3, s38
	global_load_b32 v2, v10, s[42:43]
	global_load_b32 v3, v3, s[6:7] scale_offset
	s_wait_loadcnt 0x1
	v_readfirstlane_b32 s4, v2
	s_mul_f32 s37, s4, 0x4f800000
	s_cmp_lt_f32 s4, 0xf800000
	s_delay_alu instid0(SALU_CYCLE_2) | instskip(NEXT) | instid1(SALU_CYCLE_1)
	s_cselect_b32 s37, s37, s4
	v_s_sqrt_f32 s39, s37
	s_mov_b32 s45, s37
	s_delay_alu instid0(TRANS32_DEP_1) | instskip(NEXT) | instid1(SALU_CYCLE_1)
	s_add_co_i32 s44, s39, -1
	s_xor_b32 s46, s44, 0x80000000
	s_delay_alu instid0(SALU_CYCLE_1) | instskip(SKIP_1) | instid1(SALU_CYCLE_2)
	s_fmac_f32 s45, s46, s39
	s_mov_b32 s46, s37
	s_cmp_le_f32 s45, 0
	s_cselect_b32 s44, s44, s39
	s_add_co_i32 s45, s39, 1
	s_delay_alu instid0(SALU_CYCLE_1) | instskip(NEXT) | instid1(SALU_CYCLE_1)
	s_xor_b32 s47, s45, 0x80000000
	s_fmac_f32 s46, s47, s39
	s_delay_alu instid0(SALU_CYCLE_3)
	s_cmp_gt_f32 s46, 0
	s_cselect_b32 s39, s45, s44
	s_cmp_lt_f32 s4, 0xf800000
	s_mul_f32 s44, s39, 0x37800000
	v_cmp_class_f32_e64 s45, s37, 0x260
	s_wait_loadcnt 0x0
	v_readfirstlane_b32 s4, v3
	s_cselect_b32 s39, s44, s39
	s_and_b32 s44, s45, exec_lo
	s_cselect_b32 s37, s37, s39
	s_sub_f32 s44, s35, s4
	s_add_f32 s45, s37, s37
	s_delay_alu instid0(SALU_CYCLE_2) | instskip(NEXT) | instid1(SALU_CYCLE_2)
	s_and_b32 s39, s44, 0x7fffffff
	s_and_b32 s46, s45, 0x7fffffff
	s_delay_alu instid0(SALU_CYCLE_1)
	s_cmp_ngt_f32 s39, s46
	s_cbranch_scc0 .LBB1_83
; %bb.81:                               ;   in Loop: Header=BB1_56 Depth=2
	s_cmp_nlt_f32 s39, s46
	s_cbranch_scc0 .LBB1_87
; %bb.82:                               ;   in Loop: Header=BB1_56 Depth=2
	s_wait_xcnt 0x0
	v_cvt_f64_f32_e32 v[2:3], s46
	s_delay_alu instid0(VALU_DEP_1) | instskip(NEXT) | instid1(VALU_DEP_1)
	v_mul_f64_e32 v[2:3], 0x3ff6a09e667f3bcd, v[2:3]
	v_cvt_f32_f64_e32 v4, v[2:3]
	s_cbranch_execz .LBB1_88
	s_branch .LBB1_89
.LBB1_83:                               ;   in Loop: Header=BB1_56 Depth=2
                                        ; implicit-def: $vgpr4
	s_branch .LBB1_90
.LBB1_84:                               ;   in Loop: Header=BB1_56 Depth=2
	s_wait_xcnt 0x0
	v_dual_mov_b32 v2, v12 :: v_dual_mov_b32 v9, v6
.LBB1_85:                               ;   in Loop: Header=BB1_56 Depth=2
	s_delay_alu instid0(VALU_DEP_1) | instskip(NEXT) | instid1(VALU_DEP_2)
	v_mul_f32_e32 v2, v3, v2
	v_add_f32_e32 v3, v11, v9
	s_add_co_i32 s39, s55, 1
	s_mov_b32 s4, -1
	s_clause 0x1
	global_store_b32 v10, v2, s[44:45]
	global_store_b32 v10, v3, s[40:41]
	s_and_b32 vcc_lo, exec_lo, s37
	s_cbranch_vccnz .LBB1_80
.LBB1_86:                               ;   in Loop: Header=BB1_56 Depth=2
	s_mov_b32 s55, s39
	s_and_b32 vcc_lo, exec_lo, s4
	s_cbranch_vccz .LBB1_55
	s_branch .LBB1_54
.LBB1_87:                               ;   in Loop: Header=BB1_56 Depth=2
                                        ; implicit-def: $vgpr4
.LBB1_88:                               ;   in Loop: Header=BB1_56 Depth=2
	v_div_scale_f32 v2, null, s46, s46, s39
	v_div_scale_f32 v5, vcc_lo, s39, s46, s39
	s_wait_xcnt 0x0
	s_delay_alu instid0(VALU_DEP_2)
	v_rcp_f32_e32 v3, v2
	v_nop
	v_xor_b32_e32 v2, 0x80000000, v2
	s_delay_alu instid0(TRANS32_DEP_1) | instid1(VALU_DEP_1)
	v_fma_f32 v4, v2, v3, 1.0
	s_delay_alu instid0(VALU_DEP_1) | instskip(NEXT) | instid1(VALU_DEP_1)
	v_fmac_f32_e32 v3, v4, v3
	v_mul_f32_e32 v4, v5, v3
	s_delay_alu instid0(VALU_DEP_1) | instskip(NEXT) | instid1(VALU_DEP_1)
	v_fma_f32 v6, v2, v4, v5
	v_fmac_f32_e32 v4, v6, v3
	s_delay_alu instid0(VALU_DEP_1) | instskip(NEXT) | instid1(VALU_DEP_1)
	v_fmac_f32_e32 v5, v2, v4
	v_div_fmas_f32 v2, v5, v3, v4
	s_delay_alu instid0(VALU_DEP_1) | instskip(NEXT) | instid1(VALU_DEP_1)
	v_div_fixup_f32 v2, v2, |s45|, |s44|
	v_readfirstlane_b32 s47, v2
	s_fmaak_f32 s47, s47, s47, 0x3f800000
	s_delay_alu instid0(SALU_CYCLE_3) | instskip(SKIP_1) | instid1(SALU_CYCLE_2)
	s_mul_f32 s48, s47, 0x4f800000
	s_cmp_lt_f32 s47, 0xf800000
	s_cselect_b32 s48, s48, s47
	s_delay_alu instid0(SALU_CYCLE_1) | instskip(SKIP_1) | instid1(TRANS32_DEP_1)
	v_s_sqrt_f32 s49, s48
	s_mov_b32 s57, s48
	s_add_co_i32 s56, s49, -1
	s_delay_alu instid0(SALU_CYCLE_1) | instskip(NEXT) | instid1(SALU_CYCLE_1)
	s_xor_b32 s58, s56, 0x80000000
	s_fmac_f32 s57, s58, s49
	s_mov_b32 s58, s48
	s_delay_alu instid0(SALU_CYCLE_2) | instskip(SKIP_2) | instid1(SALU_CYCLE_1)
	s_cmp_le_f32 s57, 0
	s_cselect_b32 s56, s56, s49
	s_add_co_i32 s57, s49, 1
	s_xor_b32 s59, s57, 0x80000000
	s_delay_alu instid0(SALU_CYCLE_1) | instskip(NEXT) | instid1(SALU_CYCLE_3)
	s_fmac_f32 s58, s59, s49
	s_cmp_gt_f32 s58, 0
	s_cselect_b32 s49, s57, s56
	s_cmp_lt_f32 s47, 0xf800000
	s_mul_f32 s47, s49, 0x37800000
	v_cmp_class_f32_e64 s56, s48, 0x260
	s_delay_alu instid0(SALU_CYCLE_2) | instskip(SKIP_2) | instid1(SALU_CYCLE_1)
	s_cselect_b32 s47, s47, s49
	s_and_b32 s49, s56, exec_lo
	s_cselect_b32 s47, s48, s47
	s_mul_f32 s47, s46, s47
	s_delay_alu instid0(SALU_CYCLE_3)
	v_mov_b32_e32 v4, s47
.LBB1_89:                               ;   in Loop: Header=BB1_56 Depth=2
	s_cbranch_execnz .LBB1_91
.LBB1_90:                               ;   in Loop: Header=BB1_56 Depth=2
	v_div_scale_f32 v2, null, s39, s39, s46
	v_div_scale_f32 v5, vcc_lo, s46, s39, s46
	s_wait_xcnt 0x0
	s_delay_alu instid0(VALU_DEP_2)
	v_rcp_f32_e32 v3, v2
	v_nop
	v_xor_b32_e32 v2, 0x80000000, v2
	s_delay_alu instid0(TRANS32_DEP_1) | instid1(VALU_DEP_1)
	v_fma_f32 v4, v2, v3, 1.0
	s_delay_alu instid0(VALU_DEP_1) | instskip(NEXT) | instid1(VALU_DEP_1)
	v_fmac_f32_e32 v3, v4, v3
	v_mul_f32_e32 v4, v5, v3
	s_delay_alu instid0(VALU_DEP_1) | instskip(NEXT) | instid1(VALU_DEP_1)
	v_fma_f32 v6, v2, v4, v5
	v_fmac_f32_e32 v4, v6, v3
	s_delay_alu instid0(VALU_DEP_1) | instskip(NEXT) | instid1(VALU_DEP_1)
	v_fmac_f32_e32 v5, v2, v4
	v_div_fmas_f32 v2, v5, v3, v4
	s_delay_alu instid0(VALU_DEP_1) | instskip(NEXT) | instid1(VALU_DEP_1)
	v_div_fixup_f32 v2, v2, |s44|, |s45|
	v_readfirstlane_b32 s44, v2
	s_fmaak_f32 s44, s44, s44, 0x3f800000
	s_delay_alu instid0(SALU_CYCLE_3) | instskip(SKIP_1) | instid1(SALU_CYCLE_2)
	s_mul_f32 s45, s44, 0x4f800000
	s_cmp_lt_f32 s44, 0xf800000
	s_cselect_b32 s45, s45, s44
	s_delay_alu instid0(SALU_CYCLE_1) | instskip(SKIP_1) | instid1(TRANS32_DEP_1)
	v_s_sqrt_f32 s46, s45
	s_mov_b32 s48, s45
	s_add_co_i32 s47, s46, -1
	s_delay_alu instid0(SALU_CYCLE_1) | instskip(NEXT) | instid1(SALU_CYCLE_1)
	s_xor_b32 s49, s47, 0x80000000
	s_fmac_f32 s48, s49, s46
	s_mov_b32 s49, s45
	s_delay_alu instid0(SALU_CYCLE_2) | instskip(SKIP_2) | instid1(SALU_CYCLE_1)
	s_cmp_le_f32 s48, 0
	s_cselect_b32 s47, s47, s46
	s_add_co_i32 s48, s46, 1
	s_xor_b32 s56, s48, 0x80000000
	s_delay_alu instid0(SALU_CYCLE_1) | instskip(NEXT) | instid1(SALU_CYCLE_3)
	s_fmac_f32 s49, s56, s46
	s_cmp_gt_f32 s49, 0
	s_cselect_b32 s46, s48, s47
	s_cmp_lt_f32 s44, 0xf800000
	s_mul_f32 s44, s46, 0x37800000
	v_cmp_class_f32_e64 s47, s45, 0x260
	s_delay_alu instid0(SALU_CYCLE_2) | instskip(SKIP_2) | instid1(SALU_CYCLE_1)
	s_cselect_b32 s44, s44, s46
	s_and_b32 s46, s47, exec_lo
	s_cselect_b32 s44, s45, s44
	s_mul_f32 s39, s39, s44
	s_delay_alu instid0(SALU_CYCLE_3)
	v_mov_b32_e32 v4, s39
.LBB1_91:                               ;   in Loop: Header=BB1_56 Depth=2
	s_and_b32 s39, s35, 0x7fffffff
	s_and_b32 s44, s4, 0x7fffffff
	s_delay_alu instid0(SALU_CYCLE_1) | instskip(SKIP_3) | instid1(SALU_CYCLE_1)
	s_cmp_gt_f32 s39, s44
	s_add_f32 s44, s35, s4
	s_cselect_b32 s39, s4, s35
	s_cselect_b32 s35, s35, s4
	s_cmp_nlt_f32 s44, 0
	s_cbranch_scc0 .LBB1_94
; %bb.92:                               ;   in Loop: Header=BB1_56 Depth=2
	s_cmp_ngt_f32 s44, 0
	s_cbranch_scc0 .LBB1_95
; %bb.93:                               ;   in Loop: Header=BB1_56 Depth=2
	s_wait_xcnt 0x0
	s_delay_alu instid0(VALU_DEP_1)
	v_pk_mul_f32 v[2:3], v[4:5], v[0:1] op_sel_hi:[0,1]
	s_cbranch_execz .LBB1_96
	s_branch .LBB1_97
.LBB1_94:                               ;   in Loop: Header=BB1_56 Depth=2
                                        ; implicit-def: $vgpr3
	s_branch .LBB1_98
.LBB1_95:                               ;   in Loop: Header=BB1_56 Depth=2
                                        ; implicit-def: $vgpr3
.LBB1_96:                               ;   in Loop: Header=BB1_56 Depth=2
	s_delay_alu instid0(VALU_DEP_1) | instskip(SKIP_2) | instid1(VALU_DEP_3)
	v_add_f32_e32 v2, s44, v4
	v_cvt_f64_f32_e32 v[6:7], s35
	v_cvt_f64_f32_e32 v[12:13], s37
	v_mul_f32_e32 v2, 0.5, v2
	s_delay_alu instid0(VALU_DEP_1) | instskip(NEXT) | instid1(VALU_DEP_1)
	v_cvt_f64_f32_e32 v[8:9], v2
	v_div_scale_f64 v[14:15], null, v[8:9], v[8:9], v[6:7]
	s_delay_alu instid0(VALU_DEP_4) | instskip(SKIP_1) | instid1(VALU_DEP_3)
	v_div_scale_f64 v[16:17], null, v[8:9], v[8:9], v[12:13]
	v_div_scale_f64 v[26:27], vcc_lo, v[6:7], v[8:9], v[6:7]
	v_rcp_f64_e32 v[18:19], v[14:15]
	s_delay_alu instid0(VALU_DEP_2) | instskip(NEXT) | instid1(TRANS32_DEP_2)
	v_rcp_f64_e32 v[20:21], v[16:17]
	v_fma_f64 v[22:23], -v[14:15], v[18:19], 1.0
	s_delay_alu instid0(TRANS32_DEP_1) | instskip(NEXT) | instid1(VALU_DEP_2)
	v_fma_f64 v[24:25], -v[16:17], v[20:21], 1.0
	v_fmac_f64_e32 v[18:19], v[18:19], v[22:23]
	s_delay_alu instid0(VALU_DEP_2) | instskip(NEXT) | instid1(VALU_DEP_2)
	v_fmac_f64_e32 v[20:21], v[20:21], v[24:25]
	v_fma_f64 v[22:23], -v[14:15], v[18:19], 1.0
	s_delay_alu instid0(VALU_DEP_2) | instskip(NEXT) | instid1(VALU_DEP_2)
	v_fma_f64 v[24:25], -v[16:17], v[20:21], 1.0
	v_fmac_f64_e32 v[18:19], v[18:19], v[22:23]
	v_div_scale_f64 v[22:23], s4, v[12:13], v[8:9], v[12:13]
	s_delay_alu instid0(VALU_DEP_3) | instskip(NEXT) | instid1(VALU_DEP_3)
	v_fmac_f64_e32 v[20:21], v[20:21], v[24:25]
	v_mul_f64_e32 v[24:25], v[26:27], v[18:19]
	s_delay_alu instid0(VALU_DEP_2) | instskip(NEXT) | instid1(VALU_DEP_2)
	v_mul_f64_e32 v[28:29], v[22:23], v[20:21]
	v_fma_f64 v[14:15], -v[14:15], v[24:25], v[26:27]
	s_delay_alu instid0(VALU_DEP_2) | instskip(NEXT) | instid1(VALU_DEP_2)
	v_fma_f64 v[16:17], -v[16:17], v[28:29], v[22:23]
	v_div_fmas_f64 v[14:15], v[14:15], v[18:19], v[24:25]
	s_mov_b32 vcc_lo, s4
	s_delay_alu instid0(VALU_DEP_2) | instskip(NEXT) | instid1(VALU_DEP_2)
	v_div_fmas_f64 v[16:17], v[16:17], v[20:21], v[28:29]
	v_div_fixup_f64 v[6:7], v[14:15], v[8:9], v[6:7]
	s_delay_alu instid0(VALU_DEP_2) | instskip(SKIP_1) | instid1(VALU_DEP_2)
	v_div_fixup_f64 v[16:17], v[16:17], v[8:9], v[12:13]
	v_cvt_f64_f32_e32 v[8:9], s39
	v_mul_f64_e32 v[12:13], v[16:17], v[12:13]
	s_delay_alu instid0(VALU_DEP_1) | instskip(SKIP_1) | instid1(VALU_DEP_1)
	v_fma_f64 v[6:7], v[6:7], v[8:9], -v[12:13]
	s_wait_xcnt 0x0
	v_cvt_f32_f64_e32 v3, v[6:7]
.LBB1_97:                               ;   in Loop: Header=BB1_56 Depth=2
	s_cbranch_execnz .LBB1_99
.LBB1_98:                               ;   in Loop: Header=BB1_56 Depth=2
	s_delay_alu instid0(VALU_DEP_1) | instskip(SKIP_2) | instid1(VALU_DEP_3)
	v_sub_f32_e32 v2, s44, v4
	v_cvt_f64_f32_e32 v[4:5], s35
	v_cvt_f64_f32_e32 v[8:9], s37
	v_mul_f32_e32 v2, 0.5, v2
	s_delay_alu instid0(VALU_DEP_1) | instskip(NEXT) | instid1(VALU_DEP_1)
	v_cvt_f64_f32_e32 v[6:7], v2
	v_div_scale_f64 v[12:13], null, v[6:7], v[6:7], v[4:5]
	s_delay_alu instid0(VALU_DEP_4) | instskip(SKIP_1) | instid1(VALU_DEP_3)
	v_div_scale_f64 v[14:15], null, v[6:7], v[6:7], v[8:9]
	v_div_scale_f64 v[24:25], vcc_lo, v[4:5], v[6:7], v[4:5]
	v_rcp_f64_e32 v[16:17], v[12:13]
	s_delay_alu instid0(VALU_DEP_2) | instskip(NEXT) | instid1(TRANS32_DEP_2)
	v_rcp_f64_e32 v[18:19], v[14:15]
	v_fma_f64 v[20:21], -v[12:13], v[16:17], 1.0
	s_delay_alu instid0(TRANS32_DEP_1) | instskip(NEXT) | instid1(VALU_DEP_2)
	v_fma_f64 v[22:23], -v[14:15], v[18:19], 1.0
	v_fmac_f64_e32 v[16:17], v[16:17], v[20:21]
	s_delay_alu instid0(VALU_DEP_2) | instskip(NEXT) | instid1(VALU_DEP_2)
	v_fmac_f64_e32 v[18:19], v[18:19], v[22:23]
	v_fma_f64 v[20:21], -v[12:13], v[16:17], 1.0
	s_delay_alu instid0(VALU_DEP_2) | instskip(NEXT) | instid1(VALU_DEP_2)
	v_fma_f64 v[22:23], -v[14:15], v[18:19], 1.0
	v_fmac_f64_e32 v[16:17], v[16:17], v[20:21]
	v_div_scale_f64 v[20:21], s4, v[8:9], v[6:7], v[8:9]
	s_delay_alu instid0(VALU_DEP_3) | instskip(NEXT) | instid1(VALU_DEP_3)
	v_fmac_f64_e32 v[18:19], v[18:19], v[22:23]
	v_mul_f64_e32 v[22:23], v[24:25], v[16:17]
	s_delay_alu instid0(VALU_DEP_2) | instskip(NEXT) | instid1(VALU_DEP_2)
	v_mul_f64_e32 v[26:27], v[20:21], v[18:19]
	v_fma_f64 v[12:13], -v[12:13], v[22:23], v[24:25]
	s_delay_alu instid0(VALU_DEP_2) | instskip(NEXT) | instid1(VALU_DEP_2)
	v_fma_f64 v[14:15], -v[14:15], v[26:27], v[20:21]
	v_div_fmas_f64 v[12:13], v[12:13], v[16:17], v[22:23]
	s_mov_b32 vcc_lo, s4
	s_delay_alu instid0(VALU_DEP_2) | instskip(NEXT) | instid1(VALU_DEP_2)
	v_div_fmas_f64 v[14:15], v[14:15], v[18:19], v[26:27]
	v_div_fixup_f64 v[4:5], v[12:13], v[6:7], v[4:5]
	s_delay_alu instid0(VALU_DEP_2) | instskip(SKIP_1) | instid1(VALU_DEP_2)
	v_div_fixup_f64 v[14:15], v[14:15], v[6:7], v[8:9]
	v_cvt_f64_f32_e32 v[6:7], s39
	v_mul_f64_e32 v[8:9], v[14:15], v[8:9]
	s_delay_alu instid0(VALU_DEP_1) | instskip(SKIP_1) | instid1(VALU_DEP_1)
	v_fma_f64 v[4:5], v[4:5], v[6:7], -v[8:9]
	s_wait_xcnt 0x0
	v_cvt_f32_f64_e32 v3, v[4:5]
.LBB1_99:                               ;   in Loop: Header=BB1_56 Depth=2
	s_ashr_i32 s39, s38, 31
	global_store_b32 v10, v2, s[40:41]
	s_lshl_b64 s[38:39], s[38:39], 2
	s_add_co_i32 s36, s36, 2
	s_add_nc_u64 s[38:39], s[6:7], s[38:39]
	s_clause 0x1
	global_store_b32 v10, v3, s[38:39]
	global_store_b32 v10, v10, s[42:43]
	s_cbranch_execz .LBB1_55
	s_branch .LBB1_54
.LBB1_100:                              ;   in Loop: Header=BB1_3 Depth=1
	s_and_not1_b32 vcc_lo, exec_lo, s4
	s_cbranch_vccnz .LBB1_53
.LBB1_101:                              ;   in Loop: Header=BB1_3 Depth=1
	s_and_b32 vcc_lo, exec_lo, s3
	s_cbranch_vccz .LBB1_114
.LBB1_102:                              ;   in Loop: Header=BB1_3 Depth=1
	s_mov_b32 s55, s53
	s_and_not1_b32 vcc_lo, exec_lo, s27
	s_cbranch_vccnz .LBB1_106
.LBB1_103:                              ;   in Loop: Header=BB1_3 Depth=1
	global_load_b32 v3, v10, s[30:31]
	v_div_scale_f32 v2, null, s54, s54, s15
	s_delay_alu instid0(VALU_DEP_1)
	v_rcp_f32_e32 v4, v2
	v_nop
	v_xor_b32_e32 v2, 0x80000000, v2
	s_delay_alu instid0(TRANS32_DEP_1) | instid1(VALU_DEP_1)
	v_fma_f32 v5, v2, v4, 1.0
	s_delay_alu instid0(VALU_DEP_1) | instskip(SKIP_1) | instid1(VALU_DEP_1)
	v_fmac_f32_e32 v4, v5, v4
	v_div_scale_f32 v5, vcc_lo, s15, s54, s15
	v_mul_f32_e32 v6, v5, v4
	s_delay_alu instid0(VALU_DEP_1) | instskip(NEXT) | instid1(VALU_DEP_1)
	v_fma_f32 v7, v2, v6, v5
	v_fmac_f32_e32 v6, v7, v4
	s_delay_alu instid0(VALU_DEP_1) | instskip(NEXT) | instid1(VALU_DEP_1)
	v_fmac_f32_e32 v5, v2, v6
	v_div_fmas_f32 v2, v5, v4, v6
	s_and_b32 vcc_lo, exec_lo, s2
	s_delay_alu instid0(VALU_DEP_1) | instskip(SKIP_1) | instid1(VALU_DEP_1)
	v_div_fixup_f32 v2, v2, s54, s15
	s_wait_loadcnt 0x0
	v_mul_f32_e32 v3, v2, v3
	global_store_b32 v10, v3, s[30:31]
	s_cbranch_vccnz .LBB1_106
; %bb.104:                              ;   in Loop: Header=BB1_3 Depth=1
	s_add_nc_u64 s[4:5], s[6:7], s[28:29]
	s_add_nc_u64 s[34:35], s[8:9], s[28:29]
	s_mov_b32 s3, s24
.LBB1_105:                              ;   Parent Loop BB1_3 Depth=1
                                        ; =>  This Inner Loop Header: Depth=2
	global_load_b32 v3, v10, s[4:5]
	s_add_co_i32 s3, s3, 1
	s_delay_alu instid0(SALU_CYCLE_1)
	s_cmp_lt_i32 s3, s26
	s_wait_loadcnt 0x0
	v_mul_f32_e32 v3, v2, v3
	s_clause 0x1
	global_store_b32 v10, v3, s[4:5]
	global_load_b32 v3, v10, s[34:35]
	s_add_nc_u64 s[4:5], s[4:5], 4
	s_wait_loadcnt 0x0
	v_mul_f32_e32 v3, v2, v3
	global_store_b32 v10, v3, s[34:35]
	s_wait_xcnt 0x0
	s_add_nc_u64 s[34:35], s[34:35], 4
	s_cbranch_scc1 .LBB1_105
.LBB1_106:                              ;   in Loop: Header=BB1_3 Depth=1
	s_cmp_nlt_f32 s54, s14
	s_cbranch_scc1 .LBB1_110
; %bb.107:                              ;   in Loop: Header=BB1_3 Depth=1
	global_load_b32 v3, v10, s[30:31]
	v_div_scale_f32 v2, null, s54, s54, s14
	s_delay_alu instid0(VALU_DEP_1)
	v_rcp_f32_e32 v4, v2
	v_nop
	v_xor_b32_e32 v2, 0x80000000, v2
	s_delay_alu instid0(TRANS32_DEP_1) | instid1(VALU_DEP_1)
	v_fma_f32 v5, v2, v4, 1.0
	s_delay_alu instid0(VALU_DEP_1) | instskip(SKIP_1) | instid1(VALU_DEP_1)
	v_fmac_f32_e32 v4, v5, v4
	v_div_scale_f32 v5, vcc_lo, s14, s54, s14
	v_mul_f32_e32 v6, v5, v4
	s_delay_alu instid0(VALU_DEP_1) | instskip(NEXT) | instid1(VALU_DEP_1)
	v_fma_f32 v7, v2, v6, v5
	v_fmac_f32_e32 v6, v7, v4
	s_delay_alu instid0(VALU_DEP_1) | instskip(NEXT) | instid1(VALU_DEP_1)
	v_fmac_f32_e32 v5, v2, v6
	v_div_fmas_f32 v2, v5, v4, v6
	s_and_b32 vcc_lo, exec_lo, s2
	s_delay_alu instid0(VALU_DEP_1) | instskip(SKIP_1) | instid1(VALU_DEP_1)
	v_div_fixup_f32 v2, v2, s54, s14
	s_wait_loadcnt 0x0
	v_mul_f32_e32 v3, v2, v3
	global_store_b32 v10, v3, s[30:31]
	s_cbranch_vccnz .LBB1_110
; %bb.108:                              ;   in Loop: Header=BB1_3 Depth=1
	s_add_nc_u64 s[2:3], s[6:7], s[28:29]
	s_add_nc_u64 s[4:5], s[8:9], s[28:29]
.LBB1_109:                              ;   Parent Loop BB1_3 Depth=1
                                        ; =>  This Inner Loop Header: Depth=2
	global_load_b32 v3, v10, s[2:3]
	s_add_co_i32 s24, s24, 1
	s_delay_alu instid0(SALU_CYCLE_1)
	s_cmp_lt_i32 s24, s26
	s_wait_loadcnt 0x0
	v_mul_f32_e32 v3, v2, v3
	s_clause 0x1
	global_store_b32 v10, v3, s[2:3]
	global_load_b32 v3, v10, s[4:5]
	s_add_nc_u64 s[2:3], s[2:3], 4
	s_wait_loadcnt 0x0
	v_mul_f32_e32 v3, v2, v3
	global_store_b32 v10, v3, s[4:5]
	s_wait_xcnt 0x0
	s_add_nc_u64 s[4:5], s[4:5], 4
	s_cbranch_scc1 .LBB1_109
.LBB1_110:                              ;   in Loop: Header=BB1_3 Depth=1
	s_cmp_ge_i32 s55, s12
	s_cselect_b32 s2, -1, 0
	s_cmp_ge_i32 s52, s33
	s_cselect_b32 s3, -1, 0
	s_delay_alu instid0(SALU_CYCLE_1)
	s_or_b32 s2, s3, s2
.LBB1_111:                              ;   in Loop: Header=BB1_3 Depth=1
	s_delay_alu instid0(SALU_CYCLE_1)
	s_and_b32 vcc_lo, exec_lo, s2
	s_mov_b32 s53, s55
	s_cbranch_vccz .LBB1_3
	s_branch .LBB1_158
.LBB1_112:                              ;   in Loop: Header=BB1_114 Depth=2
	s_cmp_lt_i32 s34, s25
	s_cselect_b32 s3, -1, 0
	s_cmp_ge_i32 s53, s12
	s_wait_xcnt 0x0
	s_cselect_b32 s4, -1, 0
	s_delay_alu instid0(SALU_CYCLE_1)
	s_or_b32 s35, s3, s4
.LBB1_113:                              ;   in Loop: Header=BB1_114 Depth=2
	s_delay_alu instid0(SALU_CYCLE_1)
	s_and_not1_b32 vcc_lo, exec_lo, s35
	s_cbranch_vccz .LBB1_102
.LBB1_114:                              ;   Parent Loop BB1_3 Depth=1
                                        ; =>  This Loop Header: Depth=2
                                        ;       Child Loop BB1_117 Depth 3
                                        ;       Child Loop BB1_129 Depth 3
	s_ashr_i32 s35, s34, 31
	s_wait_xcnt 0x0
	s_min_i32 s4, s25, s34
	s_wait_xcnt 0x1
	s_lshl_b64 s[38:39], s[34:35], 2
	s_mov_b32 s3, s34
	s_wait_xcnt 0x0
	s_add_nc_u64 s[40:41], s[6:7], s[38:39]
	s_add_nc_u64 s[36:37], s[22:23], s[38:39]
	s_mov_b32 s5, -1
	s_cmp_le_i32 s3, s25
	s_mov_b32 s42, -1
                                        ; implicit-def: $sgpr35
	s_cbranch_scc1 .LBB1_117
	s_branch .LBB1_116
.LBB1_115:                              ;   in Loop: Header=BB1_117 Depth=3
	s_mov_b32 s3, s35
	s_mov_b32 s5, -1
	s_cmp_le_i32 s3, s25
	s_mov_b32 s42, -1
                                        ; implicit-def: $sgpr35
	s_cbranch_scc1 .LBB1_117
.LBB1_116:                              ;   in Loop: Header=BB1_114 Depth=2
	s_clause 0x1
	global_load_b64 v[2:3], v10, s[40:41] offset:-4
	global_load_b32 v4, v10, s[36:37] offset:-8
	s_add_co_i32 s35, s3, -1
	s_wait_xcnt 0x1
	s_add_nc_u64 s[40:41], s[40:41], -4
	s_wait_xcnt 0x0
	s_add_nc_u64 s[36:37], s[36:37], -4
	s_mov_b32 s5, 0
	s_wait_loadcnt 0x1
	v_mul_f32_e32 v2, v3, v2
	s_wait_loadcnt 0x0
	v_and_b32_e32 v3, 0x7fffffff, v4
	s_delay_alu instid0(VALU_DEP_2) | instskip(NEXT) | instid1(VALU_DEP_1)
	v_and_b32_e32 v2, 0x7fffffff, v2
	v_mul_f32_e32 v2, s51, v2
	s_delay_alu instid0(VALU_DEP_1)
	v_cmp_le_f32_e64 s42, v3, v2
.LBB1_117:                              ;   Parent Loop BB1_3 Depth=1
                                        ;     Parent Loop BB1_114 Depth=2
                                        ; =>    This Inner Loop Header: Depth=3
	s_delay_alu instid0(VALU_DEP_1)
	s_and_not1_b32 vcc_lo, exec_lo, s42
	s_cbranch_vccnz .LBB1_115
; %bb.118:                              ;   in Loop: Header=BB1_114 Depth=2
	s_and_not1_b32 vcc_lo, exec_lo, s5
	s_cbranch_vccz .LBB1_120
; %bb.119:                              ;   in Loop: Header=BB1_114 Depth=2
	s_mov_b32 s4, s3
	global_store_b32 v10, v10, s[36:37] offset:-4
.LBB1_120:                              ;   in Loop: Header=BB1_114 Depth=2
	s_add_co_i32 s3, s34, -1
	s_cmp_eq_u32 s4, s34
	s_mov_b32 s35, -1
	s_cbranch_scc1 .LBB1_135
; %bb.121:                              ;   in Loop: Header=BB1_114 Depth=2
	s_wait_xcnt 0x0
	s_add_nc_u64 s[36:37], s[6:7], s[38:39]
	s_cmp_lg_u32 s4, s3
	global_load_b32 v2, v10, s[36:37]
	s_wait_loadcnt 0x0
	v_readfirstlane_b32 s44, v2
	s_cbranch_scc0 .LBB1_136
; %bb.122:                              ;   in Loop: Header=BB1_114 Depth=2
	s_mov_b32 s45, 0
	s_cmp_lg_u32 s53, s12
	s_mov_b32 s5, s12
	s_mov_b32 s3, 0
	s_cbranch_scc0 .LBB1_137
; %bb.123:                              ;   in Loop: Header=BB1_114 Depth=2
	s_add_nc_u64 s[38:39], s[10:11], s[38:39]
	s_clause 0x1
	global_load_b32 v2, v10, s[38:39] offset:-4
	global_load_b32 v3, v10, s[36:37] offset:-4
	s_wait_loadcnt 0x1
	v_readfirstlane_b32 s3, v2
	v_cmp_gt_f32_e32 vcc_lo, 0xf800000, v2
	s_mul_f32 s5, s3, 0x4f800000
	s_cmp_lt_f32 s3, 0xf800000
	s_delay_alu instid0(SALU_CYCLE_2) | instskip(NEXT) | instid1(SALU_CYCLE_1)
	s_cselect_b32 s3, s5, s3
	v_s_sqrt_f32 s5, s3
	s_mov_b32 s41, s3
	s_delay_alu instid0(TRANS32_DEP_1) | instskip(NEXT) | instid1(SALU_CYCLE_1)
	s_add_co_i32 s40, s5, -1
	s_xor_b32 s42, s40, 0x80000000
	s_delay_alu instid0(SALU_CYCLE_1) | instskip(SKIP_1) | instid1(SALU_CYCLE_2)
	s_fmac_f32 s41, s42, s5
	s_mov_b32 s42, s3
	s_cmp_le_f32 s41, 0
	s_cselect_b32 s40, s40, s5
	s_add_co_i32 s41, s5, 1
	s_delay_alu instid0(SALU_CYCLE_1) | instskip(NEXT) | instid1(SALU_CYCLE_1)
	s_xor_b32 s43, s41, 0x80000000
	s_fmac_f32 s42, s43, s5
	s_delay_alu instid0(SALU_CYCLE_3) | instskip(SKIP_1) | instid1(SALU_CYCLE_1)
	s_cmp_gt_f32 s42, 0
	s_cselect_b32 s5, s41, s40
	s_mul_f32 s40, s5, 0x37800000
	s_delay_alu instid0(SALU_CYCLE_3) | instskip(SKIP_3) | instid1(VALU_DEP_1)
	v_dual_mov_b32 v4, s4 :: v_dual_mov_b32 v5, s40
	global_load_b32 v4, v4, s[6:7] scale_offset
	v_cndmask_b32_e32 v2, s5, v5, vcc_lo
	v_cmp_class_f32_e64 s5, s3, 0x260
	v_cndmask_b32_e64 v2, v2, s3, s5
	s_wait_loadcnt 0x1
	s_delay_alu instid0(VALU_DEP_1) | instskip(NEXT) | instid1(VALU_DEP_1)
	v_dual_subrev_f32 v3, s44, v3 :: v_dual_add_f32 v5, v2, v2
	v_div_scale_f32 v6, null, v5, v5, v3
	v_div_scale_f32 v9, vcc_lo, v3, v5, v3
	s_delay_alu instid0(VALU_DEP_2)
	v_rcp_f32_e32 v7, v6
	v_nop
	v_xor_b32_e32 v6, 0x80000000, v6
	s_delay_alu instid0(TRANS32_DEP_1) | instid1(VALU_DEP_1)
	v_fma_f32 v8, v6, v7, 1.0
	s_delay_alu instid0(VALU_DEP_1) | instskip(NEXT) | instid1(VALU_DEP_1)
	v_fmac_f32_e32 v7, v8, v7
	v_mul_f32_e32 v8, v9, v7
	s_delay_alu instid0(VALU_DEP_1) | instskip(NEXT) | instid1(VALU_DEP_1)
	v_fma_f32 v11, v6, v8, v9
	v_fmac_f32_e32 v8, v11, v7
	s_delay_alu instid0(VALU_DEP_1) | instskip(NEXT) | instid1(VALU_DEP_1)
	v_fmac_f32_e32 v9, v6, v8
	v_div_fmas_f32 v6, v9, v7, v8
	s_delay_alu instid0(VALU_DEP_1) | instskip(NEXT) | instid1(VALU_DEP_1)
	v_div_fixup_f32 v3, v6, v5, v3
	v_readfirstlane_b32 s3, v3
	v_cmp_nle_f32_e32 vcc_lo, 0, v3
	s_fmaak_f32 s3, s3, s3, 0x3f800000
	s_delay_alu instid0(SALU_CYCLE_3) | instskip(SKIP_1) | instid1(SALU_CYCLE_2)
	s_mul_f32 s5, s3, 0x4f800000
	s_cmp_lt_f32 s3, 0xf800000
	s_cselect_b32 s5, s5, s3
	s_delay_alu instid0(SALU_CYCLE_1) | instskip(SKIP_1) | instid1(TRANS32_DEP_1)
	v_s_sqrt_f32 s40, s5
	s_mov_b32 s42, s5
	s_add_co_i32 s41, s40, -1
	s_delay_alu instid0(SALU_CYCLE_1) | instskip(NEXT) | instid1(SALU_CYCLE_1)
	s_xor_b32 s43, s41, 0x80000000
	s_fmac_f32 s42, s43, s40
	s_mov_b32 s43, s5
	s_delay_alu instid0(SALU_CYCLE_2) | instskip(SKIP_2) | instid1(SALU_CYCLE_1)
	s_cmp_le_f32 s42, 0
	s_cselect_b32 s41, s41, s40
	s_add_co_i32 s42, s40, 1
	s_xor_b32 s46, s42, 0x80000000
	s_delay_alu instid0(SALU_CYCLE_1) | instskip(SKIP_1) | instid1(SALU_CYCLE_2)
	s_fmac_f32 s43, s46, s40
	v_cmp_class_f32_e64 s40, s5, 0x260
	s_cmp_gt_f32 s43, 0
	s_cselect_b32 s41, s42, s41
	s_cmp_lt_f32 s3, 0xf800000
	s_mul_f32 s3, s41, 0x37800000
	s_delay_alu instid0(SALU_CYCLE_3) | instskip(SKIP_2) | instid1(SALU_CYCLE_1)
	s_cselect_b32 s3, s3, s41
	s_and_b32 s40, s40, exec_lo
	s_cselect_b32 s3, s5, s3
	s_or_b32 s5, s3, 0x80000000
	s_bitset0_b32 s3, 31
	v_mov_b32_e32 v5, s5
	s_cmp_ge_i32 s4, s34
	s_delay_alu instid0(VALU_DEP_1) | instskip(NEXT) | instid1(VALU_DEP_1)
	v_cndmask_b32_e32 v5, s3, v5, vcc_lo
	v_add_f32_e32 v3, v3, v5
	s_delay_alu instid0(VALU_DEP_1) | instskip(SKIP_1) | instid1(VALU_DEP_2)
	v_div_scale_f32 v5, null, v3, v3, v2
	v_div_scale_f32 v8, vcc_lo, v2, v3, v2
	v_rcp_f32_e32 v6, v5
	v_nop
	v_xor_b32_e32 v5, 0x80000000, v5
	s_delay_alu instid0(TRANS32_DEP_1) | instid1(VALU_DEP_1)
	v_fma_f32 v7, v5, v6, 1.0
	s_delay_alu instid0(VALU_DEP_1) | instskip(NEXT) | instid1(VALU_DEP_1)
	v_fmac_f32_e32 v6, v7, v6
	v_mul_f32_e32 v7, v8, v6
	s_delay_alu instid0(VALU_DEP_1) | instskip(NEXT) | instid1(VALU_DEP_1)
	v_fma_f32 v9, v5, v7, v8
	v_fmac_f32_e32 v7, v9, v6
	s_delay_alu instid0(VALU_DEP_1) | instskip(NEXT) | instid1(VALU_DEP_1)
	v_fmac_f32_e32 v8, v5, v7
	v_div_fmas_f32 v5, v8, v6, v7
	s_delay_alu instid0(VALU_DEP_1) | instskip(NEXT) | instid1(VALU_DEP_1)
	v_div_fixup_f32 v2, v5, v3, v2
	v_dual_mov_b32 v3, 0 :: v_dual_sub_f32 v11, s44, v2
	s_wait_loadcnt 0x0
	s_delay_alu instid0(VALU_DEP_1) | instskip(NEXT) | instid1(VALU_DEP_1)
	v_sub_f32_e32 v9, v4, v11
	v_mul_f32_e32 v2, v9, v9
	s_cbranch_scc1 .LBB1_143
; %bb.124:                              ;   in Loop: Header=BB1_114 Depth=2
	s_ashr_i32 s5, s4, 31
	s_delay_alu instid0(SALU_CYCLE_1) | instskip(NEXT) | instid1(SALU_CYCLE_1)
	s_lshl_b64 s[40:41], s[4:5], 2
	s_add_nc_u64 s[42:43], s[10:11], s[40:41]
	s_add_nc_u64 s[40:41], s[6:7], s[40:41]
	s_clause 0x1
	global_load_b32 v12, v10, s[42:43]
	global_load_b32 v13, v10, s[40:41] offset:4
	s_wait_loadcnt 0x1
	s_wait_xcnt 0x2
	v_add_f32_e32 v4, v2, v12
	s_delay_alu instid0(VALU_DEP_1) | instskip(NEXT) | instid1(VALU_DEP_1)
	v_div_scale_f32 v3, null, v4, v4, v12
	v_rcp_f32_e32 v6, v3
	v_nop
	v_xor_b32_e32 v3, 0x80000000, v3
	s_delay_alu instid0(TRANS32_DEP_1) | instid1(VALU_DEP_1)
	v_fma_f32 v8, v3, v6, 1.0
	s_delay_alu instid0(VALU_DEP_1) | instskip(SKIP_3) | instid1(VALU_DEP_3)
	v_fmac_f32_e32 v6, v8, v6
	v_div_scale_f32 v5, null, v4, v4, v2
	v_div_scale_f32 v15, vcc_lo, v12, v4, v12
	v_div_scale_f32 v8, s3, v2, v4, v2
	v_rcp_f32_e32 v7, v5
	v_nop
	v_xor_b32_e32 v5, 0x80000000, v5
	s_delay_alu instid0(TRANS32_DEP_1) | instid1(VALU_DEP_1)
	v_fma_f32 v14, v5, v7, 1.0
	s_delay_alu instid0(VALU_DEP_1) | instskip(NEXT) | instid1(VALU_DEP_1)
	v_dual_fmac_f32 v7, v14, v7 :: v_dual_mul_f32 v14, v15, v6
	v_dual_mul_f32 v16, v8, v7 :: v_dual_fma_f32 v17, v3, v14, v15
	s_delay_alu instid0(VALU_DEP_1) | instskip(NEXT) | instid1(VALU_DEP_1)
	v_fmac_f32_e32 v14, v17, v6
	v_dual_fma_f32 v18, v5, v16, v8 :: v_dual_fmac_f32 v15, v3, v14
	s_delay_alu instid0(VALU_DEP_1) | instskip(NEXT) | instid1(VALU_DEP_2)
	v_fmac_f32_e32 v16, v18, v7
	v_div_fmas_f32 v3, v15, v6, v14
	s_mov_b32 vcc_lo, s3
	s_delay_alu instid0(VALU_DEP_1) | instskip(NEXT) | instid1(VALU_DEP_3)
	v_div_fixup_f32 v3, v3, v4, v12
	v_fmac_f32_e32 v8, v5, v16
	s_delay_alu instid0(VALU_DEP_1) | instskip(SKIP_2) | instid1(VALU_DEP_2)
	v_div_fmas_f32 v5, v8, v7, v16
	s_wait_loadcnt 0x0
	v_sub_f32_e32 v8, v13, v11
	v_div_fixup_f32 v4, v5, v4, v2
	v_dual_mov_b32 v5, v3 :: v_dual_mul_f32 v2, v9, v3
	s_delay_alu instid0(VALU_DEP_2) | instskip(NEXT) | instid1(VALU_DEP_2)
	v_cmp_eq_f32_e32 vcc_lo, 0, v4
	v_pk_fma_f32 v[6:7], v[8:9], v[4:5], v[2:3] op_sel_hi:[1,1,0] neg_lo:[0,0,1] neg_hi:[0,0,1]
	s_delay_alu instid0(VALU_DEP_1) | instskip(NEXT) | instid1(VALU_DEP_1)
	v_sub_f32_e32 v2, v13, v6
	v_add_f32_e32 v2, v9, v2
	global_store_b32 v10, v2, s[40:41]
	s_cbranch_vccnz .LBB1_126
; %bb.125:                              ;   in Loop: Header=BB1_114 Depth=2
	s_wait_xcnt 0x0
	v_mul_f32_e32 v2, v6, v6
	s_delay_alu instid0(VALU_DEP_1) | instskip(NEXT) | instid1(VALU_DEP_1)
	v_div_scale_f32 v5, null, v4, v4, v2
	v_rcp_f32_e32 v7, v5
	v_nop
	v_xor_b32_e32 v5, 0x80000000, v5
	s_delay_alu instid0(TRANS32_DEP_1) | instid1(VALU_DEP_1)
	v_fma_f32 v8, v5, v7, 1.0
	s_delay_alu instid0(VALU_DEP_1) | instskip(SKIP_1) | instid1(VALU_DEP_1)
	v_fmac_f32_e32 v7, v8, v7
	v_div_scale_f32 v8, vcc_lo, v2, v4, v2
	v_mul_f32_e32 v9, v8, v7
	s_delay_alu instid0(VALU_DEP_1) | instskip(NEXT) | instid1(VALU_DEP_1)
	v_fma_f32 v12, v5, v9, v8
	v_fmac_f32_e32 v9, v12, v7
	s_delay_alu instid0(VALU_DEP_1) | instskip(NEXT) | instid1(VALU_DEP_1)
	v_fmac_f32_e32 v8, v5, v9
	v_div_fmas_f32 v5, v8, v7, v9
	s_delay_alu instid0(VALU_DEP_1)
	v_div_fixup_f32 v12, v5, v4, v2
.LBB1_126:                              ;   in Loop: Header=BB1_114 Depth=2
	s_wait_xcnt 0x0
	s_add_co_i32 s40, s4, 1
	s_delay_alu instid0(SALU_CYCLE_1)
	s_cmp_ge_i32 s40, s34
	s_cbranch_scc1 .LBB1_142
; %bb.127:                              ;   in Loop: Header=BB1_114 Depth=2
	s_ashr_i32 s41, s40, 31
	v_mov_b32_e32 v9, v6
	s_lshl_b64 s[42:43], s[40:41], 2
	s_mov_b32 s5, 1
	s_add_nc_u64 s[40:41], s[8:9], s[42:43]
	s_add_nc_u64 s[42:43], s[20:21], s[42:43]
	global_load_b32 v5, v10, s[40:41]
	s_cmp_eq_u32 s5, 0
	s_wait_loadcnt 0x0
	v_add_f32_e32 v2, v12, v5
	s_cbranch_scc1 .LBB1_129
.LBB1_128:                              ;   in Loop: Header=BB1_114 Depth=2
	s_delay_alu instid0(VALU_DEP_1)
	v_mul_f32_e32 v3, v3, v2
	global_store_b32 v10, v3, s[40:41] offset:-4
.LBB1_129:                              ;   Parent Loop BB1_3 Depth=1
                                        ;     Parent Loop BB1_114 Depth=2
                                        ; =>    This Inner Loop Header: Depth=3
	global_load_b32 v13, v10, s[42:43]
	s_wait_xcnt 0x1
	v_div_scale_f32 v3, null, v2, v2, v5
	v_div_scale_f32 v6, null, v2, v2, v12
	v_div_scale_f32 v16, vcc_lo, v5, v2, v5
	s_delay_alu instid0(VALU_DEP_3)
	v_rcp_f32_e32 v7, v3
	v_nop
	v_xor_b32_e32 v3, 0x80000000, v3
	v_rcp_f32_e32 v8, v6
	v_nop
	v_xor_b32_e32 v6, 0x80000000, v6
	s_delay_alu instid0(TRANS32_DEP_2) | instid1(VALU_DEP_3)
	v_fma_f32 v14, v3, v7, 1.0
	s_delay_alu instid0(TRANS32_DEP_1) | instid1(VALU_DEP_2)
	v_fma_f32 v15, v6, v8, 1.0
	s_delay_alu instid0(VALU_DEP_2) | instskip(SKIP_1) | instid1(VALU_DEP_2)
	v_fmac_f32_e32 v7, v14, v7
	v_div_scale_f32 v14, s3, v12, v2, v12
	v_dual_fmac_f32 v8, v15, v8 :: v_dual_mul_f32 v15, v16, v7
	s_delay_alu instid0(VALU_DEP_1) | instskip(NEXT) | instid1(VALU_DEP_1)
	v_dual_mul_f32 v17, v14, v8 :: v_dual_fma_f32 v18, v3, v15, v16
	v_fma_f32 v19, v6, v17, v14
	s_delay_alu instid0(VALU_DEP_1) | instskip(NEXT) | instid1(VALU_DEP_1)
	v_dual_fmac_f32 v15, v18, v7 :: v_dual_fmac_f32 v17, v19, v8
	v_dual_fmac_f32 v16, v3, v15 :: v_dual_fmac_f32 v14, v6, v17
	s_delay_alu instid0(VALU_DEP_1) | instskip(SKIP_1) | instid1(VALU_DEP_2)
	v_div_fmas_f32 v3, v16, v7, v15
	s_mov_b32 vcc_lo, s3
	v_div_fmas_f32 v6, v14, v8, v17
	s_delay_alu instid0(VALU_DEP_2) | instskip(NEXT) | instid1(VALU_DEP_2)
	v_div_fixup_f32 v3, v3, v2, v5
	v_div_fixup_f32 v2, v6, v2, v12
	s_delay_alu instid0(VALU_DEP_2) | instskip(NEXT) | instid1(VALU_DEP_2)
	v_mul_f32_e32 v6, v9, v3
	v_cmp_eq_f32_e32 vcc_lo, 0, v2
	s_and_b32 vcc_lo, exec_lo, vcc_lo
	s_wait_loadcnt 0x0
	v_sub_f32_e32 v8, v13, v11
	s_delay_alu instid0(VALU_DEP_1) | instskip(NEXT) | instid1(VALU_DEP_1)
	v_pk_fma_f32 v[6:7], v[8:9], v[2:3], v[6:7] op_sel_hi:[1,1,0] neg_lo:[0,0,1] neg_hi:[0,0,1]
	v_sub_f32_e32 v7, v13, v6
	s_delay_alu instid0(VALU_DEP_1)
	v_add_f32_e32 v7, v9, v7
	global_store_b32 v10, v7, s[42:43] offset:-4
	s_cbranch_vccz .LBB1_134
; %bb.130:                              ;   in Loop: Header=BB1_129 Depth=3
	v_mul_f32_e32 v12, v4, v5
	s_cbranch_execnz .LBB1_132
.LBB1_131:                              ;   in Loop: Header=BB1_129 Depth=3
	v_mul_f32_e32 v4, v6, v6
	s_delay_alu instid0(VALU_DEP_1) | instskip(SKIP_1) | instid1(VALU_DEP_1)
	v_div_scale_f32 v5, null, v2, v2, v4
	s_wait_xcnt 0x0
	v_rcp_f32_e32 v7, v5
	v_nop
	v_xor_b32_e32 v5, 0x80000000, v5
	s_delay_alu instid0(TRANS32_DEP_1) | instid1(VALU_DEP_1)
	v_fma_f32 v8, v5, v7, 1.0
	s_delay_alu instid0(VALU_DEP_1) | instskip(SKIP_1) | instid1(VALU_DEP_1)
	v_fmac_f32_e32 v7, v8, v7
	v_div_scale_f32 v8, vcc_lo, v4, v2, v4
	v_mul_f32_e32 v9, v8, v7
	s_delay_alu instid0(VALU_DEP_1) | instskip(NEXT) | instid1(VALU_DEP_1)
	v_fma_f32 v12, v5, v9, v8
	v_fmac_f32_e32 v9, v12, v7
	s_delay_alu instid0(VALU_DEP_1) | instskip(NEXT) | instid1(VALU_DEP_1)
	v_fmac_f32_e32 v8, v5, v9
	v_div_fmas_f32 v5, v8, v7, v9
	s_delay_alu instid0(VALU_DEP_1)
	v_div_fixup_f32 v12, v5, v2, v4
.LBB1_132:                              ;   in Loop: Header=BB1_129 Depth=3
	s_add_co_i32 s5, s5, 1
	s_add_nc_u64 s[40:41], s[40:41], 4
	s_add_co_i32 s3, s4, s5
	s_wait_xcnt 0x0
	s_add_nc_u64 s[42:43], s[42:43], 4
	s_cmp_ge_i32 s3, s34
	s_cbranch_scc1 .LBB1_142
; %bb.133:                              ;   in Loop: Header=BB1_129 Depth=3
	v_dual_mov_b32 v4, v2 :: v_dual_mov_b32 v9, v6
	global_load_b32 v5, v10, s[40:41]
	s_cmp_eq_u32 s5, 0
	s_wait_loadcnt 0x0
	v_add_f32_e32 v2, v12, v5
	s_cbranch_scc0 .LBB1_128
	s_branch .LBB1_129
.LBB1_134:                              ;   in Loop: Header=BB1_129 Depth=3
                                        ; implicit-def: $vgpr12
	s_branch .LBB1_131
.LBB1_135:                              ;   in Loop: Header=BB1_114 Depth=2
	s_mov_b32 s34, s3
	s_cbranch_execnz .LBB1_112
	s_branch .LBB1_113
.LBB1_136:                              ;   in Loop: Header=BB1_114 Depth=2
	s_mov_b32 s45, -1
	s_mov_b32 s3, 0
                                        ; implicit-def: $sgpr5
.LBB1_137:                              ;   in Loop: Header=BB1_114 Depth=2
	s_and_b32 vcc_lo, exec_lo, s45
	s_cbranch_vccz .LBB1_144
.LBB1_138:                              ;   in Loop: Header=BB1_114 Depth=2
	s_wait_xcnt 0x1
	v_mov_b32_e32 v2, s4
	s_clause 0x1
	global_load_b32 v3, v2, s[10:11] scale_offset
	global_load_b32 v4, v2, s[6:7] scale_offset
	s_wait_loadcnt 0x1
	v_readfirstlane_b32 s3, v3
	s_mul_f32 s5, s3, 0x4f800000
	s_cmp_lt_f32 s3, 0xf800000
	s_delay_alu instid0(SALU_CYCLE_2) | instskip(NEXT) | instid1(SALU_CYCLE_1)
	s_cselect_b32 s5, s5, s3
	v_s_sqrt_f32 s38, s5
	s_mov_b32 s40, s5
	s_delay_alu instid0(TRANS32_DEP_1) | instskip(NEXT) | instid1(SALU_CYCLE_1)
	s_add_co_i32 s39, s38, -1
	s_xor_b32 s41, s39, 0x80000000
	s_delay_alu instid0(SALU_CYCLE_1) | instskip(SKIP_1) | instid1(SALU_CYCLE_2)
	s_fmac_f32 s40, s41, s38
	s_mov_b32 s41, s5
	s_cmp_le_f32 s40, 0
	s_cselect_b32 s39, s39, s38
	s_add_co_i32 s40, s38, 1
	s_delay_alu instid0(SALU_CYCLE_1) | instskip(NEXT) | instid1(SALU_CYCLE_1)
	s_xor_b32 s42, s40, 0x80000000
	s_fmac_f32 s41, s42, s38
	s_delay_alu instid0(SALU_CYCLE_3)
	s_cmp_gt_f32 s41, 0
	s_cselect_b32 s38, s40, s39
	s_cmp_lt_f32 s3, 0xf800000
	s_mul_f32 s39, s38, 0x37800000
	v_cmp_class_f32_e64 s40, s5, 0x260
	s_wait_loadcnt 0x0
	v_readfirstlane_b32 s3, v4
	s_cselect_b32 s38, s39, s38
	s_and_b32 s39, s40, exec_lo
	s_cselect_b32 s5, s5, s38
	s_sub_f32 s39, s44, s3
	s_add_f32 s40, s5, s5
	s_delay_alu instid0(SALU_CYCLE_2) | instskip(NEXT) | instid1(SALU_CYCLE_2)
	s_and_b32 s38, s39, 0x7fffffff
	s_and_b32 s41, s40, 0x7fffffff
	s_delay_alu instid0(SALU_CYCLE_1)
	s_cmp_ngt_f32 s38, s41
	s_cbranch_scc0 .LBB1_141
; %bb.139:                              ;   in Loop: Header=BB1_114 Depth=2
	s_cmp_nlt_f32 s38, s41
	s_cbranch_scc0 .LBB1_145
; %bb.140:                              ;   in Loop: Header=BB1_114 Depth=2
	s_wait_xcnt 0x0
	v_cvt_f64_f32_e32 v[2:3], s41
	s_delay_alu instid0(VALU_DEP_1) | instskip(NEXT) | instid1(VALU_DEP_1)
	v_mul_f64_e32 v[2:3], 0x3ff6a09e667f3bcd, v[2:3]
	v_cvt_f32_f64_e32 v4, v[2:3]
	s_cbranch_execz .LBB1_146
	s_branch .LBB1_147
.LBB1_141:                              ;   in Loop: Header=BB1_114 Depth=2
                                        ; implicit-def: $vgpr4
	s_branch .LBB1_148
.LBB1_142:                              ;   in Loop: Header=BB1_114 Depth=2
	v_dual_mov_b32 v9, v6 :: v_dual_mov_b32 v2, v12
.LBB1_143:                              ;   in Loop: Header=BB1_114 Depth=2
	s_delay_alu instid0(VALU_DEP_1)
	v_dual_mul_f32 v2, v2, v3 :: v_dual_add_f32 v3, v11, v9
	s_add_co_i32 s5, s53, 1
	s_mov_b32 s3, -1
	s_clause 0x1
	global_store_b32 v10, v2, s[38:39] offset:-4
	global_store_b32 v10, v3, s[36:37]
	s_and_b32 vcc_lo, exec_lo, s45
	s_cbranch_vccnz .LBB1_138
.LBB1_144:                              ;   in Loop: Header=BB1_114 Depth=2
	s_mov_b32 s53, s5
	s_and_b32 vcc_lo, exec_lo, s3
	s_cbranch_vccz .LBB1_113
	s_branch .LBB1_112
.LBB1_145:                              ;   in Loop: Header=BB1_114 Depth=2
                                        ; implicit-def: $vgpr4
.LBB1_146:                              ;   in Loop: Header=BB1_114 Depth=2
	s_wait_xcnt 0x0
	v_div_scale_f32 v2, null, s41, s41, s38
	v_div_scale_f32 v5, vcc_lo, s38, s41, s38
	s_delay_alu instid0(VALU_DEP_2)
	v_rcp_f32_e32 v3, v2
	v_nop
	v_xor_b32_e32 v2, 0x80000000, v2
	s_delay_alu instid0(TRANS32_DEP_1) | instid1(VALU_DEP_1)
	v_fma_f32 v4, v2, v3, 1.0
	s_delay_alu instid0(VALU_DEP_1) | instskip(NEXT) | instid1(VALU_DEP_1)
	v_fmac_f32_e32 v3, v4, v3
	v_mul_f32_e32 v4, v5, v3
	s_delay_alu instid0(VALU_DEP_1) | instskip(NEXT) | instid1(VALU_DEP_1)
	v_fma_f32 v6, v2, v4, v5
	v_fmac_f32_e32 v4, v6, v3
	s_delay_alu instid0(VALU_DEP_1) | instskip(NEXT) | instid1(VALU_DEP_1)
	v_fmac_f32_e32 v5, v2, v4
	v_div_fmas_f32 v2, v5, v3, v4
	s_delay_alu instid0(VALU_DEP_1) | instskip(NEXT) | instid1(VALU_DEP_1)
	v_div_fixup_f32 v2, v2, |s40|, |s39|
	v_readfirstlane_b32 s42, v2
	s_fmaak_f32 s42, s42, s42, 0x3f800000
	s_delay_alu instid0(SALU_CYCLE_3) | instskip(SKIP_1) | instid1(SALU_CYCLE_2)
	s_mul_f32 s43, s42, 0x4f800000
	s_cmp_lt_f32 s42, 0xf800000
	s_cselect_b32 s43, s43, s42
	s_delay_alu instid0(SALU_CYCLE_1) | instskip(SKIP_1) | instid1(TRANS32_DEP_1)
	v_s_sqrt_f32 s45, s43
	s_mov_b32 s47, s43
	s_add_co_i32 s46, s45, -1
	s_delay_alu instid0(SALU_CYCLE_1) | instskip(NEXT) | instid1(SALU_CYCLE_1)
	s_xor_b32 s48, s46, 0x80000000
	s_fmac_f32 s47, s48, s45
	s_mov_b32 s48, s43
	s_delay_alu instid0(SALU_CYCLE_2) | instskip(SKIP_2) | instid1(SALU_CYCLE_1)
	s_cmp_le_f32 s47, 0
	s_cselect_b32 s46, s46, s45
	s_add_co_i32 s47, s45, 1
	s_xor_b32 s49, s47, 0x80000000
	s_delay_alu instid0(SALU_CYCLE_1) | instskip(NEXT) | instid1(SALU_CYCLE_3)
	s_fmac_f32 s48, s49, s45
	s_cmp_gt_f32 s48, 0
	s_cselect_b32 s45, s47, s46
	s_cmp_lt_f32 s42, 0xf800000
	s_mul_f32 s42, s45, 0x37800000
	v_cmp_class_f32_e64 s46, s43, 0x260
	s_delay_alu instid0(SALU_CYCLE_2) | instskip(SKIP_2) | instid1(SALU_CYCLE_1)
	s_cselect_b32 s42, s42, s45
	s_and_b32 s45, s46, exec_lo
	s_cselect_b32 s42, s43, s42
	s_mul_f32 s42, s41, s42
	s_delay_alu instid0(SALU_CYCLE_3)
	v_mov_b32_e32 v4, s42
.LBB1_147:                              ;   in Loop: Header=BB1_114 Depth=2
	s_cbranch_execnz .LBB1_149
.LBB1_148:                              ;   in Loop: Header=BB1_114 Depth=2
	s_wait_xcnt 0x0
	v_div_scale_f32 v2, null, s38, s38, s41
	v_div_scale_f32 v5, vcc_lo, s41, s38, s41
	s_delay_alu instid0(VALU_DEP_2)
	v_rcp_f32_e32 v3, v2
	v_nop
	v_xor_b32_e32 v2, 0x80000000, v2
	s_delay_alu instid0(TRANS32_DEP_1) | instid1(VALU_DEP_1)
	v_fma_f32 v4, v2, v3, 1.0
	s_delay_alu instid0(VALU_DEP_1) | instskip(NEXT) | instid1(VALU_DEP_1)
	v_fmac_f32_e32 v3, v4, v3
	v_mul_f32_e32 v4, v5, v3
	s_delay_alu instid0(VALU_DEP_1) | instskip(NEXT) | instid1(VALU_DEP_1)
	v_fma_f32 v6, v2, v4, v5
	v_fmac_f32_e32 v4, v6, v3
	s_delay_alu instid0(VALU_DEP_1) | instskip(NEXT) | instid1(VALU_DEP_1)
	v_fmac_f32_e32 v5, v2, v4
	v_div_fmas_f32 v2, v5, v3, v4
	s_delay_alu instid0(VALU_DEP_1) | instskip(NEXT) | instid1(VALU_DEP_1)
	v_div_fixup_f32 v2, v2, |s39|, |s40|
	v_readfirstlane_b32 s39, v2
	s_fmaak_f32 s39, s39, s39, 0x3f800000
	s_delay_alu instid0(SALU_CYCLE_3) | instskip(SKIP_1) | instid1(SALU_CYCLE_2)
	s_mul_f32 s40, s39, 0x4f800000
	s_cmp_lt_f32 s39, 0xf800000
	s_cselect_b32 s40, s40, s39
	s_delay_alu instid0(SALU_CYCLE_1) | instskip(SKIP_1) | instid1(TRANS32_DEP_1)
	v_s_sqrt_f32 s41, s40
	s_mov_b32 s43, s40
	s_add_co_i32 s42, s41, -1
	s_delay_alu instid0(SALU_CYCLE_1) | instskip(NEXT) | instid1(SALU_CYCLE_1)
	s_xor_b32 s45, s42, 0x80000000
	s_fmac_f32 s43, s45, s41
	s_mov_b32 s45, s40
	s_delay_alu instid0(SALU_CYCLE_2) | instskip(SKIP_2) | instid1(SALU_CYCLE_1)
	s_cmp_le_f32 s43, 0
	s_cselect_b32 s42, s42, s41
	s_add_co_i32 s43, s41, 1
	s_xor_b32 s46, s43, 0x80000000
	s_delay_alu instid0(SALU_CYCLE_1) | instskip(NEXT) | instid1(SALU_CYCLE_3)
	s_fmac_f32 s45, s46, s41
	s_cmp_gt_f32 s45, 0
	s_cselect_b32 s41, s43, s42
	s_cmp_lt_f32 s39, 0xf800000
	s_mul_f32 s39, s41, 0x37800000
	v_cmp_class_f32_e64 s42, s40, 0x260
	s_delay_alu instid0(SALU_CYCLE_2) | instskip(SKIP_2) | instid1(SALU_CYCLE_1)
	s_cselect_b32 s39, s39, s41
	s_and_b32 s41, s42, exec_lo
	s_cselect_b32 s39, s40, s39
	s_mul_f32 s38, s38, s39
	s_delay_alu instid0(SALU_CYCLE_3)
	v_mov_b32_e32 v4, s38
.LBB1_149:                              ;   in Loop: Header=BB1_114 Depth=2
	s_and_b32 s38, s44, 0x7fffffff
	s_and_b32 s39, s3, 0x7fffffff
	s_delay_alu instid0(SALU_CYCLE_1) | instskip(SKIP_3) | instid1(SALU_CYCLE_1)
	s_cmp_gt_f32 s38, s39
	s_add_f32 s39, s44, s3
	s_cselect_b32 s38, s3, s44
	s_cselect_b32 s40, s44, s3
	s_cmp_nlt_f32 s39, 0
	s_cbranch_scc0 .LBB1_152
; %bb.150:                              ;   in Loop: Header=BB1_114 Depth=2
	s_cmp_ngt_f32 s39, 0
	s_cbranch_scc0 .LBB1_153
; %bb.151:                              ;   in Loop: Header=BB1_114 Depth=2
	s_wait_xcnt 0x0
	s_delay_alu instid0(VALU_DEP_1)
	v_pk_mul_f32 v[2:3], v[4:5], v[0:1] op_sel_hi:[0,1]
	s_cbranch_execz .LBB1_154
	s_branch .LBB1_155
.LBB1_152:                              ;   in Loop: Header=BB1_114 Depth=2
                                        ; implicit-def: $vgpr3
	s_branch .LBB1_156
.LBB1_153:                              ;   in Loop: Header=BB1_114 Depth=2
                                        ; implicit-def: $vgpr3
.LBB1_154:                              ;   in Loop: Header=BB1_114 Depth=2
	s_wait_xcnt 0x0
	s_delay_alu instid0(VALU_DEP_1) | instskip(SKIP_2) | instid1(VALU_DEP_3)
	v_add_f32_e32 v2, s39, v4
	v_cvt_f64_f32_e32 v[6:7], s40
	v_cvt_f64_f32_e32 v[12:13], s5
	v_mul_f32_e32 v2, 0.5, v2
	s_delay_alu instid0(VALU_DEP_1) | instskip(NEXT) | instid1(VALU_DEP_1)
	v_cvt_f64_f32_e32 v[8:9], v2
	v_div_scale_f64 v[14:15], null, v[8:9], v[8:9], v[6:7]
	s_delay_alu instid0(VALU_DEP_4) | instskip(SKIP_1) | instid1(VALU_DEP_3)
	v_div_scale_f64 v[16:17], null, v[8:9], v[8:9], v[12:13]
	v_div_scale_f64 v[26:27], vcc_lo, v[6:7], v[8:9], v[6:7]
	v_rcp_f64_e32 v[18:19], v[14:15]
	s_delay_alu instid0(VALU_DEP_2) | instskip(NEXT) | instid1(TRANS32_DEP_2)
	v_rcp_f64_e32 v[20:21], v[16:17]
	v_fma_f64 v[22:23], -v[14:15], v[18:19], 1.0
	s_delay_alu instid0(TRANS32_DEP_1) | instskip(NEXT) | instid1(VALU_DEP_2)
	v_fma_f64 v[24:25], -v[16:17], v[20:21], 1.0
	v_fmac_f64_e32 v[18:19], v[18:19], v[22:23]
	s_delay_alu instid0(VALU_DEP_2) | instskip(NEXT) | instid1(VALU_DEP_2)
	v_fmac_f64_e32 v[20:21], v[20:21], v[24:25]
	v_fma_f64 v[22:23], -v[14:15], v[18:19], 1.0
	s_delay_alu instid0(VALU_DEP_2) | instskip(NEXT) | instid1(VALU_DEP_2)
	v_fma_f64 v[24:25], -v[16:17], v[20:21], 1.0
	v_fmac_f64_e32 v[18:19], v[18:19], v[22:23]
	v_div_scale_f64 v[22:23], s3, v[12:13], v[8:9], v[12:13]
	s_delay_alu instid0(VALU_DEP_3) | instskip(NEXT) | instid1(VALU_DEP_3)
	v_fmac_f64_e32 v[20:21], v[20:21], v[24:25]
	v_mul_f64_e32 v[24:25], v[26:27], v[18:19]
	s_delay_alu instid0(VALU_DEP_2) | instskip(NEXT) | instid1(VALU_DEP_2)
	v_mul_f64_e32 v[28:29], v[22:23], v[20:21]
	v_fma_f64 v[14:15], -v[14:15], v[24:25], v[26:27]
	s_delay_alu instid0(VALU_DEP_2) | instskip(NEXT) | instid1(VALU_DEP_2)
	v_fma_f64 v[16:17], -v[16:17], v[28:29], v[22:23]
	v_div_fmas_f64 v[14:15], v[14:15], v[18:19], v[24:25]
	s_mov_b32 vcc_lo, s3
	s_delay_alu instid0(VALU_DEP_2) | instskip(NEXT) | instid1(VALU_DEP_2)
	v_div_fmas_f64 v[16:17], v[16:17], v[20:21], v[28:29]
	v_div_fixup_f64 v[6:7], v[14:15], v[8:9], v[6:7]
	s_delay_alu instid0(VALU_DEP_2) | instskip(SKIP_1) | instid1(VALU_DEP_2)
	v_div_fixup_f64 v[16:17], v[16:17], v[8:9], v[12:13]
	v_cvt_f64_f32_e32 v[8:9], s38
	v_mul_f64_e32 v[12:13], v[16:17], v[12:13]
	s_delay_alu instid0(VALU_DEP_1) | instskip(NEXT) | instid1(VALU_DEP_1)
	v_fma_f64 v[6:7], v[6:7], v[8:9], -v[12:13]
	v_cvt_f32_f64_e32 v3, v[6:7]
.LBB1_155:                              ;   in Loop: Header=BB1_114 Depth=2
	s_cbranch_execnz .LBB1_157
.LBB1_156:                              ;   in Loop: Header=BB1_114 Depth=2
	s_wait_xcnt 0x0
	s_delay_alu instid0(VALU_DEP_1) | instskip(SKIP_2) | instid1(VALU_DEP_3)
	v_sub_f32_e32 v2, s39, v4
	v_cvt_f64_f32_e32 v[4:5], s40
	v_cvt_f64_f32_e32 v[8:9], s5
	v_mul_f32_e32 v2, 0.5, v2
	s_delay_alu instid0(VALU_DEP_1) | instskip(NEXT) | instid1(VALU_DEP_1)
	v_cvt_f64_f32_e32 v[6:7], v2
	v_div_scale_f64 v[12:13], null, v[6:7], v[6:7], v[4:5]
	s_delay_alu instid0(VALU_DEP_4) | instskip(SKIP_1) | instid1(VALU_DEP_3)
	v_div_scale_f64 v[14:15], null, v[6:7], v[6:7], v[8:9]
	v_div_scale_f64 v[24:25], vcc_lo, v[4:5], v[6:7], v[4:5]
	v_rcp_f64_e32 v[16:17], v[12:13]
	s_delay_alu instid0(VALU_DEP_2) | instskip(NEXT) | instid1(TRANS32_DEP_2)
	v_rcp_f64_e32 v[18:19], v[14:15]
	v_fma_f64 v[20:21], -v[12:13], v[16:17], 1.0
	s_delay_alu instid0(TRANS32_DEP_1) | instskip(NEXT) | instid1(VALU_DEP_2)
	v_fma_f64 v[22:23], -v[14:15], v[18:19], 1.0
	v_fmac_f64_e32 v[16:17], v[16:17], v[20:21]
	s_delay_alu instid0(VALU_DEP_2) | instskip(NEXT) | instid1(VALU_DEP_2)
	v_fmac_f64_e32 v[18:19], v[18:19], v[22:23]
	v_fma_f64 v[20:21], -v[12:13], v[16:17], 1.0
	s_delay_alu instid0(VALU_DEP_2) | instskip(NEXT) | instid1(VALU_DEP_2)
	v_fma_f64 v[22:23], -v[14:15], v[18:19], 1.0
	v_fmac_f64_e32 v[16:17], v[16:17], v[20:21]
	v_div_scale_f64 v[20:21], s3, v[8:9], v[6:7], v[8:9]
	s_delay_alu instid0(VALU_DEP_3) | instskip(NEXT) | instid1(VALU_DEP_3)
	v_fmac_f64_e32 v[18:19], v[18:19], v[22:23]
	v_mul_f64_e32 v[22:23], v[24:25], v[16:17]
	s_delay_alu instid0(VALU_DEP_2) | instskip(NEXT) | instid1(VALU_DEP_2)
	v_mul_f64_e32 v[26:27], v[20:21], v[18:19]
	v_fma_f64 v[12:13], -v[12:13], v[22:23], v[24:25]
	s_delay_alu instid0(VALU_DEP_2) | instskip(NEXT) | instid1(VALU_DEP_2)
	v_fma_f64 v[14:15], -v[14:15], v[26:27], v[20:21]
	v_div_fmas_f64 v[12:13], v[12:13], v[16:17], v[22:23]
	s_mov_b32 vcc_lo, s3
	s_delay_alu instid0(VALU_DEP_2) | instskip(NEXT) | instid1(VALU_DEP_2)
	v_div_fmas_f64 v[14:15], v[14:15], v[18:19], v[26:27]
	v_div_fixup_f64 v[4:5], v[12:13], v[6:7], v[4:5]
	s_delay_alu instid0(VALU_DEP_2) | instskip(SKIP_1) | instid1(VALU_DEP_2)
	v_div_fixup_f64 v[14:15], v[14:15], v[6:7], v[8:9]
	v_cvt_f64_f32_e32 v[6:7], s38
	v_mul_f64_e32 v[8:9], v[14:15], v[8:9]
	s_delay_alu instid0(VALU_DEP_1) | instskip(NEXT) | instid1(VALU_DEP_1)
	v_fma_f64 v[4:5], v[4:5], v[6:7], -v[8:9]
	v_cvt_f32_f64_e32 v3, v[4:5]
.LBB1_157:                              ;   in Loop: Header=BB1_114 Depth=2
	s_ashr_i32 s5, s4, 31
	global_store_b32 v10, v2, s[36:37]
	s_lshl_b64 s[4:5], s[4:5], 2
	s_add_co_i32 s34, s34, -2
	s_wait_xcnt 0x0
	s_add_nc_u64 s[36:37], s[6:7], s[4:5]
	s_add_nc_u64 s[4:5], s[10:11], s[4:5]
	global_store_b32 v10, v3, s[36:37]
	global_store_b32 v10, v10, s[4:5]
	s_cbranch_execz .LBB1_113
	s_branch .LBB1_112
.LBB1_158:
	s_cmp_lt_i32 s33, 2
	s_cbranch_scc1 .LBB1_169
; %bb.159:
	s_load_b64 s[0:1], s[0:1], 0x28
	v_mov_b32_e32 v0, 0
	s_lshl_b64 s[2:3], s[16:17], 2
	s_wait_kmcnt 0x0
	s_add_nc_u64 s[0:1], s[0:1], s[2:3]
	s_mov_b32 s2, 1
	s_branch .LBB1_161
.LBB1_160:                              ;   in Loop: Header=BB1_161 Depth=1
	s_add_co_i32 s2, s2, 1
	s_wait_xcnt 0x0
	s_add_nc_u64 s[10:11], s[10:11], 4
	s_cmp_lg_u32 s33, s2
	s_cbranch_scc0 .LBB1_163
.LBB1_161:                              ; =>This Inner Loop Header: Depth=1
	global_load_b32 v1, v0, s[10:11]
	s_wait_loadcnt 0x0
	v_cmp_eq_f32_e32 vcc_lo, 0, v1
	s_cbranch_vccnz .LBB1_160
; %bb.162:                              ;   in Loop: Header=BB1_161 Depth=1
	global_load_b32 v1, v0, s[0:1]
	s_wait_loadcnt 0x0
	v_add_nc_u32_e32 v1, 1, v1
	global_store_b32 v0, v1, s[0:1]
	s_branch .LBB1_160
.LBB1_163:
	v_mov_b32_e32 v0, 0
	s_add_nc_u64 s[0:1], s[6:7], 4
	s_mov_b32 s2, 1
	s_branch .LBB1_165
.LBB1_164:                              ;   in Loop: Header=BB1_165 Depth=1
	s_add_co_i32 s2, s2, 1
	s_add_nc_u64 s[0:1], s[0:1], 4
	s_cmp_lg_u32 s2, s33
	s_cbranch_scc0 .LBB1_169
.LBB1_165:                              ; =>This Loop Header: Depth=1
                                        ;     Child Loop BB1_166 Depth 2
	s_add_co_i32 s10, s2, -1
	s_wait_xcnt 0x1
	v_dual_mov_b32 v1, s2 :: v_dual_mov_b32 v2, s10
	s_ashr_i32 s3, s2, 31
	s_mov_b64 s[8:9], s[0:1]
	s_wait_xcnt 0x0
	s_lshl_b64 s[4:5], s[2:3], 2
	global_load_b32 v1, v1, s[6:7] offset:-4 scale_offset
	s_add_nc_u64 s[4:5], s[6:7], s[4:5]
	s_mov_b32 s3, s2
	s_wait_loadcnt 0x0
	v_mov_b32_e32 v3, v1
.LBB1_166:                              ;   Parent Loop BB1_165 Depth=1
                                        ; =>  This Inner Loop Header: Depth=2
	global_load_b32 v4, v0, s[8:9]
	s_wait_xcnt 0x0
	s_add_nc_u64 s[8:9], s[8:9], 4
	s_wait_loadcnt 0x0
	v_cmp_lt_f32_e32 vcc_lo, v4, v3
	v_cndmask_b32_e32 v3, v3, v4, vcc_lo
	v_cndmask_b32_e64 v2, v2, s3, vcc_lo
	s_add_co_i32 s3, s3, 1
	s_delay_alu instid0(SALU_CYCLE_1)
	s_cmp_eq_u32 s33, s3
	s_cbranch_scc0 .LBB1_166
; %bb.167:                              ;   in Loop: Header=BB1_165 Depth=1
	s_delay_alu instid0(VALU_DEP_1)
	v_cmp_ne_u32_e32 vcc_lo, s10, v2
	s_cbranch_vccz .LBB1_164
; %bb.168:                              ;   in Loop: Header=BB1_165 Depth=1
	s_clause 0x1
	global_store_b32 v2, v1, s[6:7] scale_offset
	global_store_b32 v0, v3, s[4:5] offset:-4
	s_branch .LBB1_164
.LBB1_169:
	s_endpgm
	.section	.rodata,"a",@progbits
	.p2align	6, 0x0
	.amdhsa_kernel _ZN9rocsolver6v33100L12sterf_kernelIfEEviPT_lS3_lPiS4_iS2_S2_S2_
		.amdhsa_group_segment_fixed_size 0
		.amdhsa_private_segment_fixed_size 0
		.amdhsa_kernarg_size 72
		.amdhsa_user_sgpr_count 2
		.amdhsa_user_sgpr_dispatch_ptr 0
		.amdhsa_user_sgpr_queue_ptr 0
		.amdhsa_user_sgpr_kernarg_segment_ptr 1
		.amdhsa_user_sgpr_dispatch_id 0
		.amdhsa_user_sgpr_kernarg_preload_length 0
		.amdhsa_user_sgpr_kernarg_preload_offset 0
		.amdhsa_user_sgpr_private_segment_size 0
		.amdhsa_wavefront_size32 1
		.amdhsa_uses_dynamic_stack 0
		.amdhsa_enable_private_segment 0
		.amdhsa_system_sgpr_workgroup_id_x 1
		.amdhsa_system_sgpr_workgroup_id_y 0
		.amdhsa_system_sgpr_workgroup_id_z 0
		.amdhsa_system_sgpr_workgroup_info 0
		.amdhsa_system_vgpr_workitem_id 0
		.amdhsa_next_free_vgpr 30
		.amdhsa_next_free_sgpr 60
		.amdhsa_named_barrier_count 0
		.amdhsa_reserve_vcc 1
		.amdhsa_float_round_mode_32 0
		.amdhsa_float_round_mode_16_64 0
		.amdhsa_float_denorm_mode_32 3
		.amdhsa_float_denorm_mode_16_64 3
		.amdhsa_fp16_overflow 0
		.amdhsa_memory_ordered 1
		.amdhsa_forward_progress 1
		.amdhsa_inst_pref_size 81
		.amdhsa_round_robin_scheduling 0
		.amdhsa_exception_fp_ieee_invalid_op 0
		.amdhsa_exception_fp_denorm_src 0
		.amdhsa_exception_fp_ieee_div_zero 0
		.amdhsa_exception_fp_ieee_overflow 0
		.amdhsa_exception_fp_ieee_underflow 0
		.amdhsa_exception_fp_ieee_inexact 0
		.amdhsa_exception_int_div_zero 0
	.end_amdhsa_kernel
	.section	.text._ZN9rocsolver6v33100L12sterf_kernelIfEEviPT_lS3_lPiS4_iS2_S2_S2_,"axG",@progbits,_ZN9rocsolver6v33100L12sterf_kernelIfEEviPT_lS3_lPiS4_iS2_S2_S2_,comdat
.Lfunc_end1:
	.size	_ZN9rocsolver6v33100L12sterf_kernelIfEEviPT_lS3_lPiS4_iS2_S2_S2_, .Lfunc_end1-_ZN9rocsolver6v33100L12sterf_kernelIfEEviPT_lS3_lPiS4_iS2_S2_S2_
                                        ; -- End function
	.set _ZN9rocsolver6v33100L12sterf_kernelIfEEviPT_lS3_lPiS4_iS2_S2_S2_.num_vgpr, 30
	.set _ZN9rocsolver6v33100L12sterf_kernelIfEEviPT_lS3_lPiS4_iS2_S2_S2_.num_agpr, 0
	.set _ZN9rocsolver6v33100L12sterf_kernelIfEEviPT_lS3_lPiS4_iS2_S2_S2_.numbered_sgpr, 60
	.set _ZN9rocsolver6v33100L12sterf_kernelIfEEviPT_lS3_lPiS4_iS2_S2_S2_.num_named_barrier, 0
	.set _ZN9rocsolver6v33100L12sterf_kernelIfEEviPT_lS3_lPiS4_iS2_S2_S2_.private_seg_size, 0
	.set _ZN9rocsolver6v33100L12sterf_kernelIfEEviPT_lS3_lPiS4_iS2_S2_S2_.uses_vcc, 1
	.set _ZN9rocsolver6v33100L12sterf_kernelIfEEviPT_lS3_lPiS4_iS2_S2_S2_.uses_flat_scratch, 0
	.set _ZN9rocsolver6v33100L12sterf_kernelIfEEviPT_lS3_lPiS4_iS2_S2_S2_.has_dyn_sized_stack, 0
	.set _ZN9rocsolver6v33100L12sterf_kernelIfEEviPT_lS3_lPiS4_iS2_S2_S2_.has_recursion, 0
	.set _ZN9rocsolver6v33100L12sterf_kernelIfEEviPT_lS3_lPiS4_iS2_S2_S2_.has_indirect_call, 0
	.section	.AMDGPU.csdata,"",@progbits
; Kernel info:
; codeLenInByte = 10352
; TotalNumSgprs: 62
; NumVgprs: 30
; ScratchSize: 0
; MemoryBound: 0
; FloatMode: 240
; IeeeMode: 1
; LDSByteSize: 0 bytes/workgroup (compile time only)
; SGPRBlocks: 0
; VGPRBlocks: 1
; NumSGPRsForWavesPerEU: 62
; NumVGPRsForWavesPerEU: 30
; NamedBarCnt: 0
; Occupancy: 16
; WaveLimiterHint : 0
; COMPUTE_PGM_RSRC2:SCRATCH_EN: 0
; COMPUTE_PGM_RSRC2:USER_SGPR: 2
; COMPUTE_PGM_RSRC2:TRAP_HANDLER: 0
; COMPUTE_PGM_RSRC2:TGID_X_EN: 1
; COMPUTE_PGM_RSRC2:TGID_Y_EN: 0
; COMPUTE_PGM_RSRC2:TGID_Z_EN: 0
; COMPUTE_PGM_RSRC2:TIDIG_COMP_CNT: 0
	.section	.text._ZN9rocsolver6v33100L12sterf_kernelIdEEviPT_lS3_lPiS4_iS2_S2_S2_,"axG",@progbits,_ZN9rocsolver6v33100L12sterf_kernelIdEEviPT_lS3_lPiS4_iS2_S2_S2_,comdat
	.globl	_ZN9rocsolver6v33100L12sterf_kernelIdEEviPT_lS3_lPiS4_iS2_S2_S2_ ; -- Begin function _ZN9rocsolver6v33100L12sterf_kernelIdEEviPT_lS3_lPiS4_iS2_S2_S2_
	.p2align	8
	.type	_ZN9rocsolver6v33100L12sterf_kernelIdEEviPT_lS3_lPiS4_iS2_S2_S2_,@function
_ZN9rocsolver6v33100L12sterf_kernelIdEEviPT_lS3_lPiS4_iS2_S2_S2_: ; @_ZN9rocsolver6v33100L12sterf_kernelIdEEviPT_lS3_lPiS4_iS2_S2_S2_
; %bb.0:
	s_clause 0x2
	s_load_b256 s[4:11], s[0:1], 0x8
	s_load_b32 s33, s[0:1], 0x0
	s_load_b32 s56, s[0:1], 0x38
	s_bfe_u32 s2, ttmp6, 0x4000c
	s_and_b32 s3, ttmp6, 15
	s_add_co_i32 s2, s2, 1
	s_getreg_b32 s12, hwreg(HW_REG_IB_STS2, 6, 4)
	s_mul_i32 s2, ttmp9, s2
	s_mov_b32 s29, 0
	s_add_co_i32 s3, s3, s2
	s_cmp_eq_u32 s12, 0
	s_cselect_b32 s16, ttmp9, s3
	s_delay_alu instid0(SALU_CYCLE_1)
	s_ashr_i32 s17, s16, 31
	s_wait_kmcnt 0x0
	s_mul_u64 s[2:3], s[6:7], s[16:17]
	s_mul_u64 s[6:7], s[10:11], s[16:17]
	s_min_i32 s12, s33, s56
	s_lshl_b64 s[10:11], s[2:3], 3
	s_lshl_b64 s[2:3], s[6:7], 3
	s_cmp_lt_i32 s12, 1
	s_add_nc_u64 s[6:7], s[4:5], s[10:11]
	s_add_nc_u64 s[10:11], s[8:9], s[2:3]
	s_cbranch_scc1 .LBB2_147
; %bb.1:
	s_clause 0x1
	s_load_b128 s[12:15], s[0:1], 0x40
	s_load_b64 s[18:19], s[0:1], 0x50
	v_mov_b64_e32 v[2:3], 0
	v_mov_b32_e32 v24, 0
	s_add_nc_u64 s[8:9], s[8:9], s[2:3]
	s_add_co_i32 s57, s33, -1
	s_mov_b64 s[20:21], 0x3ff6a09e667f3bcd
	s_add_nc_u64 s[22:23], s[8:9], -8
	s_add_nc_u64 s[24:25], s[6:7], 8
	s_add_nc_u64 s[26:27], s[8:9], 8
	s_mov_b32 s58, 0
	s_wait_kmcnt 0x0
	v_mul_f64_e64 v[0:1], s[12:13], s[12:13]
	s_branch .LBB2_3
.LBB2_2:                                ;   in Loop: Header=BB2_3 Depth=1
	s_and_not1_b32 vcc_lo, exec_lo, s2
	s_cbranch_vccz .LBB2_20
.LBB2_3:                                ; =>This Loop Header: Depth=1
                                        ;     Child Loop BB2_7 Depth 2
                                        ;     Child Loop BB2_14 Depth 2
	;; [unrolled: 1-line block ×6, first 2 shown]
                                        ;       Child Loop BB2_56 Depth 3
                                        ;       Child Loop BB2_69 Depth 3
                                        ;     Child Loop BB2_101 Depth 2
                                        ;       Child Loop BB2_103 Depth 3
                                        ;       Child Loop BB2_116 Depth 3
                                        ;     Child Loop BB2_46 Depth 2
                                        ;     Child Loop BB2_50 Depth 2
	s_mov_b32 s28, s29
	s_cmp_lt_i32 s29, 1
	s_cbranch_scc1 .LBB2_5
; %bb.4:                                ;   in Loop: Header=BB2_3 Depth=1
	s_wait_xcnt 0x0
	v_mov_b32_e32 v4, s28
	global_store_b64 v4, v[2:3], s[10:11] offset:-8 scale_offset
.LBB2_5:                                ;   in Loop: Header=BB2_3 Depth=1
	s_ashr_i32 s29, s28, 31
	s_mov_b32 s30, s28
	s_lshl_b64 s[34:35], s[28:29], 3
	s_wait_xcnt 0x0
	s_add_nc_u64 s[4:5], s[22:23], s[34:35]
	s_add_nc_u64 s[36:37], s[24:25], s[34:35]
	s_mov_b32 s2, -1
	s_cmp_ge_i32 s30, s57
	s_mov_b32 s3, -1
                                        ; implicit-def: $sgpr29
	s_cbranch_scc1 .LBB2_7
.LBB2_6:                                ;   in Loop: Header=BB2_3 Depth=1
	s_wait_loadcnt 0x0
	s_clause 0x1
	global_load_b128 v[4:7], v24, s[36:37] offset:-8
	global_load_b64 v[16:17], v24, s[4:5] offset:8
	s_wait_xcnt 0x0
	s_add_nc_u64 s[4:5], s[4:5], 8
	s_add_nc_u64 s[36:37], s[36:37], 8
	s_wait_loadcnt 0x1
	v_cmp_gt_f64_e64 s2, 0x10000000, |v[4:5]|
	v_cmp_gt_f64_e64 s3, 0x10000000, |v[6:7]|
	s_and_b32 s2, s2, exec_lo
	s_cselect_b32 s2, 0x100, 0
	s_cselect_b32 s31, 0xffffff80, 0
	s_add_co_i32 s29, s30, 1
	s_and_b32 s3, s3, exec_lo
	v_ldexp_f64 v[4:5], |v[4:5]|, s2
	s_cselect_b32 s2, 0x100, 0
	s_delay_alu instid0(SALU_CYCLE_1) | instskip(SKIP_1) | instid1(VALU_DEP_2)
	v_ldexp_f64 v[6:7], |v[6:7]|, s2
	s_cselect_b32 s2, 0xffffff80, 0
	v_cmp_class_f64_e64 vcc_lo, v[4:5], 0x260
	v_rsq_f64_e32 v[8:9], v[4:5]
	s_delay_alu instid0(VALU_DEP_2) | instskip(SKIP_1) | instid1(TRANS32_DEP_1)
	v_rsq_f64_e32 v[10:11], v[6:7]
	v_nop
	v_mul_f64_e32 v[14:15], v[6:7], v[10:11]
	v_mul_f64_e32 v[10:11], 0.5, v[10:11]
	s_delay_alu instid0(VALU_DEP_1) | instskip(NEXT) | instid1(VALU_DEP_1)
	v_fma_f64 v[20:21], -v[10:11], v[14:15], 0.5
	v_fmac_f64_e32 v[14:15], v[14:15], v[20:21]
	v_fmac_f64_e32 v[10:11], v[10:11], v[20:21]
	s_delay_alu instid0(VALU_DEP_2) | instskip(NEXT) | instid1(VALU_DEP_1)
	v_fma_f64 v[20:21], -v[14:15], v[14:15], v[6:7]
	v_fmac_f64_e32 v[14:15], v[20:21], v[10:11]
	s_delay_alu instid0(VALU_DEP_1) | instskip(NEXT) | instid1(VALU_DEP_1)
	v_fma_f64 v[20:21], -v[14:15], v[14:15], v[6:7]
	v_fmac_f64_e32 v[14:15], v[20:21], v[10:11]
	s_delay_alu instid0(VALU_DEP_1) | instskip(SKIP_1) | instid1(TRANS32_DEP_2)
	v_ldexp_f64 v[10:11], v[14:15], s2
	v_cmp_class_f64_e64 s2, v[6:7], 0x260
	v_mul_f64_e32 v[12:13], v[4:5], v[8:9]
	s_delay_alu instid0(VALU_DEP_2) | instskip(NEXT) | instid1(VALU_DEP_4)
	v_dual_mul_f64 v[8:9], 0.5, v[8:9] :: v_dual_cndmask_b32 v6, v10, v6, s2
	v_cndmask_b32_e64 v7, v11, v7, s2
	s_delay_alu instid0(VALU_DEP_2) | instskip(SKIP_1) | instid1(VALU_DEP_1)
	v_fma_f64 v[18:19], -v[8:9], v[12:13], 0.5
	s_mov_b32 s2, 0
	v_fmac_f64_e32 v[12:13], v[12:13], v[18:19]
	v_fmac_f64_e32 v[8:9], v[8:9], v[18:19]
	s_delay_alu instid0(VALU_DEP_2) | instskip(NEXT) | instid1(VALU_DEP_1)
	v_fma_f64 v[18:19], -v[12:13], v[12:13], v[4:5]
	v_fmac_f64_e32 v[12:13], v[18:19], v[8:9]
	s_delay_alu instid0(VALU_DEP_1) | instskip(NEXT) | instid1(VALU_DEP_1)
	v_fma_f64 v[18:19], -v[12:13], v[12:13], v[4:5]
	v_fmac_f64_e32 v[12:13], v[18:19], v[8:9]
	s_delay_alu instid0(VALU_DEP_1) | instskip(NEXT) | instid1(VALU_DEP_1)
	v_ldexp_f64 v[8:9], v[12:13], s31
	v_dual_cndmask_b32 v5, v9, v5 :: v_dual_cndmask_b32 v4, v8, v4
	s_delay_alu instid0(VALU_DEP_1) | instskip(NEXT) | instid1(VALU_DEP_1)
	v_mul_f64_e32 v[4:5], v[4:5], v[6:7]
	v_mul_f64_e32 v[4:5], s[12:13], v[4:5]
	s_wait_loadcnt 0x0
	s_delay_alu instid0(VALU_DEP_1)
	v_cmp_le_f64_e64 s3, |v[16:17]|, v[4:5]
.LBB2_7:                                ;   Parent Loop BB2_3 Depth=1
                                        ; =>  This Inner Loop Header: Depth=2
	s_delay_alu instid0(VALU_DEP_1)
	s_and_not1_b32 vcc_lo, exec_lo, s3
	s_cbranch_vccz .LBB2_9
; %bb.8:                                ;   in Loop: Header=BB2_7 Depth=2
	s_mov_b32 s30, s29
	s_mov_b32 s2, -1
	s_cmp_ge_i32 s30, s57
	s_mov_b32 s3, -1
                                        ; implicit-def: $sgpr29
	s_cbranch_scc0 .LBB2_6
	s_branch .LBB2_7
.LBB2_9:                                ;   in Loop: Header=BB2_3 Depth=1
	s_and_not1_b32 vcc_lo, exec_lo, s2
	s_mov_b32 s2, -1
	s_cbranch_vccnz .LBB2_16
; %bb.10:                               ;   in Loop: Header=BB2_3 Depth=1
	s_and_not1_b32 vcc_lo, exec_lo, s2
	s_cbranch_vccz .LBB2_17
.LBB2_11:                               ;   in Loop: Header=BB2_3 Depth=1
	s_cmp_lg_u32 s30, s28
	s_mov_b32 s38, -1
	s_cbranch_scc0 .LBB2_18
.LBB2_12:                               ;   in Loop: Header=BB2_3 Depth=1
	s_wait_xcnt 0x0
	v_mov_b32_e32 v4, s30
	s_cmp_lt_i32 s28, s30
	s_cselect_b32 s40, -1, 0
	s_cmp_ge_i32 s28, s30
	s_wait_loadcnt 0x0
	global_load_b64 v[6:7], v4, s[6:7] scale_offset
	s_wait_loadcnt 0x0
	v_and_b32_e32 v5, 0x7fffffff, v7
	s_wait_xcnt 0x0
	v_mov_b32_e32 v4, v6
	s_cbranch_scc1 .LBB2_15
; %bb.13:                               ;   in Loop: Header=BB2_3 Depth=1
	s_add_nc_u64 s[2:3], s[6:7], s[34:35]
	s_add_nc_u64 s[4:5], s[8:9], s[34:35]
	s_mov_b32 s31, s28
.LBB2_14:                               ;   Parent Loop BB2_3 Depth=1
                                        ; =>  This Inner Loop Header: Depth=2
	s_clause 0x1
	global_load_b64 v[8:9], v24, s[4:5]
	global_load_b64 v[10:11], v24, s[2:3]
	v_max_num_f64_e32 v[4:5], v[4:5], v[4:5]
	s_add_co_i32 s31, s31, 1
	s_wait_xcnt 0x0
	s_add_nc_u64 s[2:3], s[2:3], 8
	s_cmp_lt_i32 s31, s30
	s_add_nc_u64 s[4:5], s[4:5], 8
	s_wait_loadcnt 0x1
	v_max_num_f64_e64 v[8:9], |v[8:9]|, |v[8:9]|
	s_wait_loadcnt 0x0
	v_max_num_f64_e64 v[10:11], |v[10:11]|, |v[10:11]|
	s_delay_alu instid0(VALU_DEP_1) | instskip(NEXT) | instid1(VALU_DEP_1)
	v_max_num_f64_e32 v[8:9], v[10:11], v[8:9]
	v_max_num_f64_e32 v[4:5], v[4:5], v[8:9]
	s_cbranch_scc1 .LBB2_14
.LBB2_15:                               ;   in Loop: Header=BB2_3 Depth=1
	s_ashr_i32 s31, s30, 31
	s_delay_alu instid0(SALU_CYCLE_1) | instskip(NEXT) | instid1(SALU_CYCLE_1)
	s_lshl_b64 s[2:3], s[30:31], 3
	s_add_nc_u64 s[36:37], s[6:7], s[2:3]
	s_delay_alu instid0(VALU_DEP_1)
	v_cmp_eq_f64_e64 s2, 0, v[4:5]
	s_and_b32 vcc_lo, exec_lo, s2
	s_mov_b32 s2, -1
	s_cbranch_vccz .LBB2_2
	s_branch .LBB2_19
.LBB2_16:                               ;   in Loop: Header=BB2_3 Depth=1
	global_store_b64 v24, v[2:3], s[4:5]
	s_cbranch_execnz .LBB2_11
.LBB2_17:                               ;   in Loop: Header=BB2_3 Depth=1
	s_max_i32 s30, s28, s57
	s_delay_alu instid0(SALU_CYCLE_1)
	s_add_co_i32 s29, s30, 1
	s_cmp_lg_u32 s30, s28
	s_mov_b32 s38, -1
	s_cbranch_scc1 .LBB2_12
.LBB2_18:                               ;   in Loop: Header=BB2_3 Depth=1
                                        ; implicit-def: $sgpr36_sgpr37
                                        ; implicit-def: $vgpr6_vgpr7
                                        ; implicit-def: $sgpr40
                                        ; implicit-def: $vgpr4_vgpr5
	s_mov_b32 s2, -1
	s_cbranch_execz .LBB2_2
.LBB2_19:                               ;   in Loop: Header=BB2_3 Depth=1
	s_cmp_ge_i32 s29, s33
	s_mov_b32 s38, 0
	s_cselect_b32 s2, -1, 0
	s_branch .LBB2_2
.LBB2_20:                               ;   in Loop: Header=BB2_3 Depth=1
	s_and_b32 vcc_lo, exec_lo, s38
	s_mov_b32 s2, -1
                                        ; implicit-def: $sgpr59
	s_cbranch_vccz .LBB2_52
; %bb.21:                               ;   in Loop: Header=BB2_3 Depth=1
	v_cmp_nlt_f64_e32 vcc_lo, s[18:19], v[4:5]
	s_add_nc_u64 s[38:39], s[6:7], s[34:35]
	s_cbranch_vccz .LBB2_27
; %bb.22:                               ;   in Loop: Header=BB2_3 Depth=1
	v_cmp_gt_f64_e32 vcc_lo, s[14:15], v[4:5]
	s_cbranch_vccz .LBB2_28
; %bb.23:                               ;   in Loop: Header=BB2_3 Depth=1
	v_div_scale_f64 v[8:9], null, s[14:15], s[14:15], v[4:5]
	v_div_scale_f64 v[14:15], vcc_lo, v[4:5], s[14:15], v[4:5]
	s_mov_b32 s2, 0
	v_rcp_f64_e32 v[10:11], v[8:9]
	v_nop
	s_delay_alu instid0(TRANS32_DEP_1) | instskip(NEXT) | instid1(VALU_DEP_1)
	v_fma_f64 v[12:13], -v[8:9], v[10:11], 1.0
	v_fmac_f64_e32 v[10:11], v[10:11], v[12:13]
	s_delay_alu instid0(VALU_DEP_1) | instskip(NEXT) | instid1(VALU_DEP_1)
	v_fma_f64 v[12:13], -v[8:9], v[10:11], 1.0
	v_fmac_f64_e32 v[10:11], v[10:11], v[12:13]
	s_delay_alu instid0(VALU_DEP_1) | instskip(NEXT) | instid1(VALU_DEP_1)
	v_mul_f64_e32 v[12:13], v[14:15], v[10:11]
	v_fma_f64 v[8:9], -v[8:9], v[12:13], v[14:15]
	s_delay_alu instid0(VALU_DEP_1) | instskip(SKIP_1) | instid1(VALU_DEP_1)
	v_div_fmas_f64 v[8:9], v[8:9], v[10:11], v[12:13]
	s_and_b32 vcc_lo, exec_lo, s40
	v_div_fixup_f64 v[8:9], v[8:9], s[14:15], v[4:5]
	s_wait_loadcnt 0x0
	s_delay_alu instid0(VALU_DEP_1)
	v_mul_f64_e32 v[10:11], v[6:7], v[8:9]
	global_store_b64 v24, v[10:11], s[36:37]
	s_cbranch_vccz .LBB2_28
; %bb.24:                               ;   in Loop: Header=BB2_3 Depth=1
	s_add_nc_u64 s[2:3], s[6:7], s[34:35]
	s_wait_xcnt 0x1
	s_add_nc_u64 s[4:5], s[8:9], s[34:35]
	s_mov_b32 s31, s28
.LBB2_25:                               ;   Parent Loop BB2_3 Depth=1
                                        ; =>  This Inner Loop Header: Depth=2
	global_load_b64 v[10:11], v24, s[2:3]
	s_add_co_i32 s31, s31, 1
	s_delay_alu instid0(SALU_CYCLE_1)
	s_cmp_lt_i32 s31, s30
	s_wait_loadcnt 0x0
	v_mul_f64_e32 v[10:11], v[8:9], v[10:11]
	s_clause 0x1
	global_store_b64 v24, v[10:11], s[2:3]
	global_load_b64 v[10:11], v24, s[4:5]
	s_add_nc_u64 s[2:3], s[2:3], 8
	s_wait_loadcnt 0x0
	v_mul_f64_e32 v[10:11], v[8:9], v[10:11]
	global_store_b64 v24, v[10:11], s[4:5]
	s_wait_xcnt 0x0
	s_add_nc_u64 s[4:5], s[4:5], 8
	s_cbranch_scc1 .LBB2_25
; %bb.26:                               ;   in Loop: Header=BB2_3 Depth=1
	s_mov_b32 s2, -1
	s_branch .LBB2_33
.LBB2_27:                               ;   in Loop: Header=BB2_3 Depth=1
	s_mov_b32 s2, 0
	s_cbranch_execnz .LBB2_29
	s_branch .LBB2_33
.LBB2_28:                               ;   in Loop: Header=BB2_3 Depth=1
	s_branch .LBB2_33
.LBB2_29:                               ;   in Loop: Header=BB2_3 Depth=1
	v_div_scale_f64 v[8:9], null, s[18:19], s[18:19], v[4:5]
	v_div_scale_f64 v[14:15], vcc_lo, v[4:5], s[18:19], v[4:5]
	s_wait_xcnt 0x0
	s_delay_alu instid0(VALU_DEP_2) | instskip(SKIP_1) | instid1(TRANS32_DEP_1)
	v_rcp_f64_e32 v[10:11], v[8:9]
	v_nop
	v_fma_f64 v[12:13], -v[8:9], v[10:11], 1.0
	s_delay_alu instid0(VALU_DEP_1) | instskip(NEXT) | instid1(VALU_DEP_1)
	v_fmac_f64_e32 v[10:11], v[10:11], v[12:13]
	v_fma_f64 v[12:13], -v[8:9], v[10:11], 1.0
	s_delay_alu instid0(VALU_DEP_1) | instskip(NEXT) | instid1(VALU_DEP_1)
	v_fmac_f64_e32 v[10:11], v[10:11], v[12:13]
	v_mul_f64_e32 v[12:13], v[14:15], v[10:11]
	s_delay_alu instid0(VALU_DEP_1) | instskip(NEXT) | instid1(VALU_DEP_1)
	v_fma_f64 v[8:9], -v[8:9], v[12:13], v[14:15]
	v_div_fmas_f64 v[8:9], v[8:9], v[10:11], v[12:13]
	s_and_b32 vcc_lo, exec_lo, s40
	s_delay_alu instid0(VALU_DEP_1) | instskip(SKIP_1) | instid1(VALU_DEP_1)
	v_div_fixup_f64 v[8:9], v[8:9], s[18:19], v[4:5]
	s_wait_loadcnt 0x0
	v_mul_f64_e32 v[6:7], v[6:7], v[8:9]
	global_store_b64 v24, v[6:7], s[36:37]
	s_cbranch_vccz .LBB2_33
; %bb.30:                               ;   in Loop: Header=BB2_3 Depth=1
	s_add_nc_u64 s[2:3], s[6:7], s[34:35]
	s_add_nc_u64 s[4:5], s[8:9], s[34:35]
	s_mov_b32 s31, s28
.LBB2_31:                               ;   Parent Loop BB2_3 Depth=1
                                        ; =>  This Inner Loop Header: Depth=2
	global_load_b64 v[6:7], v24, s[2:3]
	s_add_co_i32 s31, s31, 1
	s_delay_alu instid0(SALU_CYCLE_1)
	s_cmp_ge_i32 s31, s30
	s_wait_loadcnt 0x0
	v_mul_f64_e32 v[6:7], v[8:9], v[6:7]
	s_clause 0x1
	global_store_b64 v24, v[6:7], s[2:3]
	global_load_b64 v[6:7], v24, s[4:5]
	s_add_nc_u64 s[2:3], s[2:3], 8
	s_wait_loadcnt 0x0
	v_mul_f64_e32 v[6:7], v[8:9], v[6:7]
	global_store_b64 v24, v[6:7], s[4:5]
	s_wait_xcnt 0x0
	s_add_nc_u64 s[4:5], s[4:5], 8
	s_cbranch_scc0 .LBB2_31
; %bb.32:                               ;   in Loop: Header=BB2_3 Depth=1
	s_mov_b32 s2, -1
.LBB2_33:                               ;   in Loop: Header=BB2_3 Depth=1
	s_wait_xcnt 0x0
	s_wait_loadcnt 0x0
	v_cndmask_b32_e64 v6, 0, 1, s40
	s_and_b32 vcc_lo, exec_lo, s2
	s_delay_alu instid0(VALU_DEP_1)
	v_cmp_ne_u32_e64 s2, 1, v6
	s_cbranch_vccz .LBB2_37
; %bb.34:                               ;   in Loop: Header=BB2_3 Depth=1
	s_and_b32 vcc_lo, exec_lo, s2
	s_cbranch_vccnz .LBB2_37
; %bb.35:                               ;   in Loop: Header=BB2_3 Depth=1
	s_add_nc_u64 s[4:5], s[8:9], s[34:35]
	s_mov_b32 s3, s28
.LBB2_36:                               ;   Parent Loop BB2_3 Depth=1
                                        ; =>  This Inner Loop Header: Depth=2
	global_load_b64 v[6:7], v24, s[4:5]
	s_add_co_i32 s3, s3, 1
	s_delay_alu instid0(SALU_CYCLE_1)
	s_cmp_lt_i32 s3, s30
	s_wait_loadcnt 0x0
	v_mul_f64_e32 v[6:7], v[6:7], v[6:7]
	global_store_b64 v24, v[6:7], s[4:5]
	s_wait_xcnt 0x0
	s_add_nc_u64 s[4:5], s[4:5], 8
	s_cbranch_scc1 .LBB2_36
.LBB2_37:                               ;   in Loop: Header=BB2_3 Depth=1
	s_clause 0x1
	global_load_b64 v[6:7], v24, s[36:37]
	global_load_b64 v[8:9], v24, s[38:39]
	s_mov_b32 s4, -1
                                        ; implicit-def: $sgpr59
	s_wait_loadcnt 0x0
	v_cmp_lt_f64_e64 s3, |v[6:7]|, |v[8:9]|
	s_and_b32 s3, s3, exec_lo
	s_cselect_b32 s31, s28, s30
	s_cselect_b32 s40, s30, s28
	s_cmp_lt_i32 s58, s56
	s_cselect_b32 s3, -1, 0
	s_cmp_lt_i32 s31, s40
	v_cndmask_b32_e64 v6, 0, 1, s3
	s_delay_alu instid0(VALU_DEP_1)
	v_cmp_ne_u32_e64 s3, 1, v6
	s_cbranch_scc0 .LBB2_40
; %bb.38:                               ;   in Loop: Header=BB2_3 Depth=1
	s_and_not1_b32 vcc_lo, exec_lo, s4
	s_cbranch_vccz .LBB2_42
.LBB2_39:                               ;   in Loop: Header=BB2_3 Depth=1
	v_cmp_lt_f64_e32 vcc_lo, s[18:19], v[4:5]
	s_and_not1_b32 vcc_lo, exec_lo, vcc_lo
	s_cbranch_vccz .LBB2_44
	s_branch .LBB2_47
.LBB2_40:                               ;   in Loop: Header=BB2_3 Depth=1
	s_and_b32 vcc_lo, exec_lo, s3
	s_mov_b32 s59, s58
	s_mov_b32 s42, s40
	s_cbranch_vccz .LBB2_54
.LBB2_41:                               ;   in Loop: Header=BB2_3 Depth=1
	s_cbranch_execnz .LBB2_39
.LBB2_42:                               ;   in Loop: Header=BB2_3 Depth=1
	s_and_b32 vcc_lo, exec_lo, s3
	s_cbranch_vccz .LBB2_101
.LBB2_43:                               ;   in Loop: Header=BB2_3 Depth=1
	s_mov_b32 s59, s58
	v_cmp_lt_f64_e32 vcc_lo, s[18:19], v[4:5]
	s_and_not1_b32 vcc_lo, exec_lo, vcc_lo
	s_cbranch_vccnz .LBB2_47
.LBB2_44:                               ;   in Loop: Header=BB2_3 Depth=1
	s_wait_loadcnt 0x0
	v_div_scale_f64 v[6:7], null, v[4:5], v[4:5], s[18:19]
	global_load_b64 v[8:9], v24, s[36:37]
	v_rcp_f64_e32 v[10:11], v[6:7]
	v_nop
	s_delay_alu instid0(TRANS32_DEP_1) | instskip(NEXT) | instid1(VALU_DEP_1)
	v_fma_f64 v[12:13], -v[6:7], v[10:11], 1.0
	v_fmac_f64_e32 v[10:11], v[10:11], v[12:13]
	s_delay_alu instid0(VALU_DEP_1) | instskip(NEXT) | instid1(VALU_DEP_1)
	v_fma_f64 v[12:13], -v[6:7], v[10:11], 1.0
	v_fmac_f64_e32 v[10:11], v[10:11], v[12:13]
	v_div_scale_f64 v[12:13], vcc_lo, s[18:19], v[4:5], s[18:19]
	s_delay_alu instid0(VALU_DEP_1) | instskip(NEXT) | instid1(VALU_DEP_1)
	v_mul_f64_e32 v[14:15], v[12:13], v[10:11]
	v_fma_f64 v[6:7], -v[6:7], v[14:15], v[12:13]
	s_delay_alu instid0(VALU_DEP_1) | instskip(SKIP_1) | instid1(VALU_DEP_1)
	v_div_fmas_f64 v[6:7], v[6:7], v[10:11], v[14:15]
	s_and_b32 vcc_lo, exec_lo, s2
	v_div_fixup_f64 v[6:7], v[6:7], v[4:5], s[18:19]
	s_wait_loadcnt 0x0
	s_delay_alu instid0(VALU_DEP_1)
	v_mul_f64_e32 v[8:9], v[6:7], v[8:9]
	global_store_b64 v24, v[8:9], s[36:37]
	s_cbranch_vccnz .LBB2_47
; %bb.45:                               ;   in Loop: Header=BB2_3 Depth=1
	s_add_nc_u64 s[4:5], s[6:7], s[34:35]
	s_add_nc_u64 s[40:41], s[8:9], s[34:35]
	s_mov_b32 s3, s28
.LBB2_46:                               ;   Parent Loop BB2_3 Depth=1
                                        ; =>  This Inner Loop Header: Depth=2
	global_load_b64 v[8:9], v24, s[4:5]
	s_add_co_i32 s3, s3, 1
	s_delay_alu instid0(SALU_CYCLE_1)
	s_cmp_lt_i32 s3, s30
	s_wait_loadcnt 0x0
	v_mul_f64_e32 v[8:9], v[6:7], v[8:9]
	s_clause 0x1
	global_store_b64 v24, v[8:9], s[4:5]
	global_load_b64 v[8:9], v24, s[40:41]
	s_add_nc_u64 s[4:5], s[4:5], 8
	s_wait_loadcnt 0x0
	v_mul_f64_e32 v[8:9], v[6:7], v[8:9]
	global_store_b64 v24, v[8:9], s[40:41]
	s_wait_xcnt 0x0
	s_add_nc_u64 s[40:41], s[40:41], 8
	s_cbranch_scc1 .LBB2_46
.LBB2_47:                               ;   in Loop: Header=BB2_3 Depth=1
	v_cmp_ngt_f64_e32 vcc_lo, s[14:15], v[4:5]
	s_cbranch_vccnz .LBB2_51
; %bb.48:                               ;   in Loop: Header=BB2_3 Depth=1
	s_wait_loadcnt 0x0
	v_div_scale_f64 v[6:7], null, v[4:5], v[4:5], s[14:15]
	global_load_b64 v[8:9], v24, s[36:37]
	v_rcp_f64_e32 v[10:11], v[6:7]
	v_nop
	s_delay_alu instid0(TRANS32_DEP_1) | instskip(NEXT) | instid1(VALU_DEP_1)
	v_fma_f64 v[12:13], -v[6:7], v[10:11], 1.0
	v_fmac_f64_e32 v[10:11], v[10:11], v[12:13]
	s_delay_alu instid0(VALU_DEP_1) | instskip(NEXT) | instid1(VALU_DEP_1)
	v_fma_f64 v[12:13], -v[6:7], v[10:11], 1.0
	v_fmac_f64_e32 v[10:11], v[10:11], v[12:13]
	v_div_scale_f64 v[12:13], vcc_lo, s[14:15], v[4:5], s[14:15]
	s_delay_alu instid0(VALU_DEP_1) | instskip(NEXT) | instid1(VALU_DEP_1)
	v_mul_f64_e32 v[14:15], v[12:13], v[10:11]
	v_fma_f64 v[6:7], -v[6:7], v[14:15], v[12:13]
	s_delay_alu instid0(VALU_DEP_1) | instskip(SKIP_1) | instid1(VALU_DEP_1)
	v_div_fmas_f64 v[6:7], v[6:7], v[10:11], v[14:15]
	s_and_b32 vcc_lo, exec_lo, s2
	v_div_fixup_f64 v[4:5], v[6:7], v[4:5], s[14:15]
	s_wait_loadcnt 0x0
	s_delay_alu instid0(VALU_DEP_1)
	v_mul_f64_e32 v[6:7], v[4:5], v[8:9]
	global_store_b64 v24, v[6:7], s[36:37]
	s_cbranch_vccnz .LBB2_51
; %bb.49:                               ;   in Loop: Header=BB2_3 Depth=1
	s_add_nc_u64 s[2:3], s[8:9], s[34:35]
.LBB2_50:                               ;   Parent Loop BB2_3 Depth=1
                                        ; =>  This Inner Loop Header: Depth=2
	global_load_b64 v[6:7], v24, s[38:39]
	s_add_co_i32 s28, s28, 1
	s_delay_alu instid0(SALU_CYCLE_1)
	s_cmp_lt_i32 s28, s30
	s_wait_loadcnt 0x0
	v_mul_f64_e32 v[6:7], v[4:5], v[6:7]
	s_clause 0x1
	global_store_b64 v24, v[6:7], s[38:39]
	global_load_b64 v[6:7], v24, s[2:3]
	s_add_nc_u64 s[38:39], s[38:39], 8
	s_wait_loadcnt 0x0
	v_mul_f64_e32 v[6:7], v[4:5], v[6:7]
	global_store_b64 v24, v[6:7], s[2:3]
	s_wait_xcnt 0x0
	s_add_nc_u64 s[2:3], s[2:3], 8
	s_cbranch_scc1 .LBB2_50
.LBB2_51:                               ;   in Loop: Header=BB2_3 Depth=1
	s_cmp_ge_i32 s59, s56
	s_cselect_b32 s2, -1, 0
	s_cmp_ge_i32 s29, s33
	s_cselect_b32 s3, -1, 0
	s_delay_alu instid0(SALU_CYCLE_1)
	s_or_b32 s2, s3, s2
.LBB2_52:                               ;   in Loop: Header=BB2_3 Depth=1
	s_delay_alu instid0(SALU_CYCLE_1)
	s_and_b32 vcc_lo, exec_lo, s2
	s_mov_b32 s58, s59
	s_cbranch_vccz .LBB2_3
	s_branch .LBB2_147
.LBB2_53:                               ;   in Loop: Header=BB2_54 Depth=2
	s_and_not1_b32 vcc_lo, exec_lo, s5
	s_cbranch_vccz .LBB2_41
.LBB2_54:                               ;   Parent Loop BB2_3 Depth=1
                                        ; =>  This Loop Header: Depth=2
                                        ;       Child Loop BB2_56 Depth 3
                                        ;       Child Loop BB2_69 Depth 3
	s_ashr_i32 s43, s42, 31
	s_wait_xcnt 0x1
	s_max_i32 s44, s31, s42
	s_wait_xcnt 0x0
	s_lshl_b64 s[48:49], s[42:43], 3
	s_mov_b32 s41, s42
	s_add_nc_u64 s[4:5], s[22:23], s[48:49]
	s_add_nc_u64 s[46:47], s[24:25], s[48:49]
	s_mov_b32 s43, -1
	s_cmp_ge_i32 s41, s31
	s_mov_b32 s50, -1
                                        ; implicit-def: $sgpr45
	s_cbranch_scc1 .LBB2_56
.LBB2_55:                               ;   in Loop: Header=BB2_54 Depth=2
	s_wait_loadcnt 0x0
	s_clause 0x1
	global_load_b128 v[6:9], v24, s[46:47] offset:-8
	global_load_b64 v[10:11], v24, s[4:5] offset:8
	s_wait_xcnt 0x0
	s_add_nc_u64 s[4:5], s[4:5], 8
	s_add_co_i32 s45, s41, 1
	s_add_nc_u64 s[46:47], s[46:47], 8
	s_mov_b32 s43, 0
	s_wait_loadcnt 0x1
	v_mul_f64_e32 v[6:7], v[6:7], v[8:9]
	s_delay_alu instid0(VALU_DEP_1) | instskip(SKIP_1) | instid1(VALU_DEP_1)
	v_mul_f64_e64 v[6:7], v[0:1], |v[6:7]|
	s_wait_loadcnt 0x0
	v_cmp_le_f64_e64 s50, |v[10:11]|, v[6:7]
.LBB2_56:                               ;   Parent Loop BB2_3 Depth=1
                                        ;     Parent Loop BB2_54 Depth=2
                                        ; =>    This Inner Loop Header: Depth=3
	s_delay_alu instid0(VALU_DEP_1)
	s_and_not1_b32 vcc_lo, exec_lo, s50
	s_cbranch_vccz .LBB2_58
; %bb.57:                               ;   in Loop: Header=BB2_56 Depth=3
	s_mov_b32 s41, s45
	s_mov_b32 s43, -1
	s_cmp_ge_i32 s41, s31
	s_mov_b32 s50, -1
                                        ; implicit-def: $sgpr45
	s_cbranch_scc0 .LBB2_55
	s_branch .LBB2_56
.LBB2_58:                               ;   in Loop: Header=BB2_54 Depth=2
	s_and_not1_b32 vcc_lo, exec_lo, s43
	s_cbranch_vccz .LBB2_60
; %bb.59:                               ;   in Loop: Header=BB2_54 Depth=2
	s_mov_b32 s44, s41
	global_store_b64 v24, v[2:3], s[4:5]
.LBB2_60:                               ;   in Loop: Header=BB2_54 Depth=2
	s_wait_xcnt 0x0
	s_add_co_i32 s4, s42, 1
	s_cmp_eq_u32 s44, s42
	s_mov_b32 s5, -1
	s_cbranch_scc1 .LBB2_75
; %bb.61:                               ;   in Loop: Header=BB2_54 Depth=2
	s_add_nc_u64 s[46:47], s[6:7], s[48:49]
	s_cmp_lg_u32 s44, s4
	s_wait_loadcnt 0x0
	global_load_b64 v[6:7], v24, s[46:47]
	s_cbranch_scc0 .LBB2_76
; %bb.62:                               ;   in Loop: Header=BB2_54 Depth=2
	s_mov_b32 s41, 0
	s_cmp_lg_u32 s59, s56
	s_mov_b32 s43, s56
	s_mov_b32 s4, 0
	s_cbranch_scc0 .LBB2_77
; %bb.63:                               ;   in Loop: Header=BB2_54 Depth=2
	s_add_nc_u64 s[50:51], s[10:11], s[48:49]
	s_clause 0x1
	global_load_b64 v[8:9], v24, s[50:51]
	global_load_b64 v[10:11], v24, s[46:47] offset:8
	s_wait_loadcnt 0x1
	v_cmp_gt_f64_e32 vcc_lo, 0x10000000, v[8:9]
	s_wait_loadcnt 0x0
	v_add_f64_e64 v[10:11], v[10:11], -v[6:7]
	s_and_b32 s4, vcc_lo, exec_lo
	s_cselect_b32 s4, 0x100, 0
	s_delay_alu instid0(SALU_CYCLE_1) | instskip(SKIP_1) | instid1(VALU_DEP_1)
	v_ldexp_f64 v[8:9], v[8:9], s4
	s_cselect_b32 s4, 0xffffff80, 0
	v_rsq_f64_e32 v[12:13], v[8:9]
	v_cmp_class_f64_e64 vcc_lo, v[8:9], 0x260
	s_delay_alu instid0(TRANS32_DEP_1) | instskip(SKIP_1) | instid1(VALU_DEP_1)
	v_mul_f64_e32 v[14:15], v[8:9], v[12:13]
	v_mul_f64_e32 v[12:13], 0.5, v[12:13]
	v_fma_f64 v[16:17], -v[12:13], v[14:15], 0.5
	s_delay_alu instid0(VALU_DEP_1) | instskip(SKIP_1) | instid1(VALU_DEP_2)
	v_fmac_f64_e32 v[14:15], v[14:15], v[16:17]
	v_fmac_f64_e32 v[12:13], v[12:13], v[16:17]
	v_fma_f64 v[16:17], -v[14:15], v[14:15], v[8:9]
	s_delay_alu instid0(VALU_DEP_1) | instskip(NEXT) | instid1(VALU_DEP_1)
	v_fmac_f64_e32 v[14:15], v[16:17], v[12:13]
	v_fma_f64 v[16:17], -v[14:15], v[14:15], v[8:9]
	s_delay_alu instid0(VALU_DEP_1) | instskip(NEXT) | instid1(VALU_DEP_1)
	v_fmac_f64_e32 v[14:15], v[16:17], v[12:13]
	v_ldexp_f64 v[12:13], v[14:15], s4
	s_delay_alu instid0(VALU_DEP_1) | instskip(NEXT) | instid1(VALU_DEP_1)
	v_dual_cndmask_b32 v9, v13, v9 :: v_dual_cndmask_b32 v8, v12, v8
	v_add_f64_e32 v[12:13], v[8:9], v[8:9]
	s_delay_alu instid0(VALU_DEP_1) | instskip(SKIP_1) | instid1(VALU_DEP_2)
	v_div_scale_f64 v[14:15], null, v[12:13], v[12:13], v[10:11]
	v_div_scale_f64 v[20:21], vcc_lo, v[10:11], v[12:13], v[10:11]
	v_rcp_f64_e32 v[16:17], v[14:15]
	v_nop
	s_delay_alu instid0(TRANS32_DEP_1) | instskip(NEXT) | instid1(VALU_DEP_1)
	v_fma_f64 v[18:19], -v[14:15], v[16:17], 1.0
	v_fmac_f64_e32 v[16:17], v[16:17], v[18:19]
	s_delay_alu instid0(VALU_DEP_1) | instskip(NEXT) | instid1(VALU_DEP_1)
	v_fma_f64 v[18:19], -v[14:15], v[16:17], 1.0
	v_fmac_f64_e32 v[16:17], v[16:17], v[18:19]
	s_delay_alu instid0(VALU_DEP_1) | instskip(NEXT) | instid1(VALU_DEP_1)
	v_mul_f64_e32 v[18:19], v[20:21], v[16:17]
	v_fma_f64 v[14:15], -v[14:15], v[18:19], v[20:21]
	s_delay_alu instid0(VALU_DEP_1) | instskip(NEXT) | instid1(VALU_DEP_1)
	v_div_fmas_f64 v[14:15], v[14:15], v[16:17], v[18:19]
	v_div_fixup_f64 v[10:11], v[14:15], v[12:13], v[10:11]
	s_delay_alu instid0(VALU_DEP_1) | instskip(NEXT) | instid1(VALU_DEP_1)
	v_fma_f64 v[12:13], v[10:11], v[10:11], 1.0
	v_cmp_gt_f64_e32 vcc_lo, 0x10000000, v[12:13]
	s_and_b32 s4, vcc_lo, exec_lo
	s_cselect_b32 s4, 0x100, 0
	s_delay_alu instid0(SALU_CYCLE_1) | instskip(SKIP_2) | instid1(VALU_DEP_1)
	v_ldexp_f64 v[12:13], v[12:13], s4
	s_cselect_b32 s4, 0xffffff80, 0
	s_cmp_le_i32 s44, s42
	v_rsq_f64_e32 v[14:15], v[12:13]
	v_cmp_class_f64_e64 vcc_lo, v[12:13], 0x260
	s_delay_alu instid0(TRANS32_DEP_1) | instskip(SKIP_1) | instid1(VALU_DEP_1)
	v_mul_f64_e32 v[16:17], v[12:13], v[14:15]
	v_mul_f64_e32 v[14:15], 0.5, v[14:15]
	v_fma_f64 v[18:19], -v[14:15], v[16:17], 0.5
	s_delay_alu instid0(VALU_DEP_1) | instskip(SKIP_1) | instid1(VALU_DEP_2)
	v_fmac_f64_e32 v[16:17], v[16:17], v[18:19]
	v_fmac_f64_e32 v[14:15], v[14:15], v[18:19]
	v_fma_f64 v[18:19], -v[16:17], v[16:17], v[12:13]
	s_delay_alu instid0(VALU_DEP_1) | instskip(NEXT) | instid1(VALU_DEP_1)
	v_fmac_f64_e32 v[16:17], v[18:19], v[14:15]
	v_fma_f64 v[18:19], -v[16:17], v[16:17], v[12:13]
	s_delay_alu instid0(VALU_DEP_1) | instskip(NEXT) | instid1(VALU_DEP_1)
	v_fmac_f64_e32 v[16:17], v[18:19], v[14:15]
	v_ldexp_f64 v[14:15], v[16:17], s4
	v_mov_b32_e32 v16, s44
	global_load_b64 v[16:17], v16, s[6:7] scale_offset
	v_cndmask_b32_e32 v13, v15, v13, vcc_lo
	s_delay_alu instid0(VALU_DEP_1) | instskip(SKIP_3) | instid1(VALU_DEP_3)
	v_and_b32_e32 v15, 0x7fffffff, v13
	v_or_b32_e32 v13, 0x80000000, v13
	v_cndmask_b32_e32 v12, v14, v12, vcc_lo
	v_cmp_nle_f64_e32 vcc_lo, 0, v[10:11]
	v_cndmask_b32_e32 v13, v15, v13, vcc_lo
	s_delay_alu instid0(VALU_DEP_1) | instskip(NEXT) | instid1(VALU_DEP_1)
	v_add_f64_e32 v[10:11], v[10:11], v[12:13]
	v_div_scale_f64 v[12:13], null, v[10:11], v[10:11], v[8:9]
	s_delay_alu instid0(VALU_DEP_1) | instskip(SKIP_1) | instid1(TRANS32_DEP_1)
	v_rcp_f64_e32 v[14:15], v[12:13]
	v_nop
	v_fma_f64 v[18:19], -v[12:13], v[14:15], 1.0
	s_delay_alu instid0(VALU_DEP_1) | instskip(NEXT) | instid1(VALU_DEP_1)
	v_fmac_f64_e32 v[14:15], v[14:15], v[18:19]
	v_fma_f64 v[18:19], -v[12:13], v[14:15], 1.0
	s_delay_alu instid0(VALU_DEP_1) | instskip(SKIP_1) | instid1(VALU_DEP_1)
	v_fmac_f64_e32 v[14:15], v[14:15], v[18:19]
	v_div_scale_f64 v[18:19], vcc_lo, v[8:9], v[10:11], v[8:9]
	v_mul_f64_e32 v[20:21], v[18:19], v[14:15]
	s_delay_alu instid0(VALU_DEP_1) | instskip(NEXT) | instid1(VALU_DEP_1)
	v_fma_f64 v[12:13], -v[12:13], v[20:21], v[18:19]
	v_div_fmas_f64 v[12:13], v[12:13], v[14:15], v[20:21]
	s_delay_alu instid0(VALU_DEP_1) | instskip(SKIP_1) | instid1(VALU_DEP_2)
	v_div_fixup_f64 v[8:9], v[12:13], v[10:11], v[8:9]
	v_mov_b64_e32 v[12:13], 0
	v_add_f64_e64 v[8:9], v[6:7], -v[8:9]
	s_wait_loadcnt 0x0
	s_delay_alu instid0(VALU_DEP_1) | instskip(SKIP_1) | instid1(VALU_DEP_1)
	v_add_f64_e64 v[14:15], v[16:17], -v[8:9]
	s_wait_xcnt 0x0
	v_mul_f64_e32 v[16:17], v[14:15], v[14:15]
	s_cbranch_scc1 .LBB2_97
; %bb.64:                               ;   in Loop: Header=BB2_54 Depth=2
	s_ashr_i32 s45, s44, 31
	s_delay_alu instid0(SALU_CYCLE_1) | instskip(NEXT) | instid1(SALU_CYCLE_1)
	s_lshl_b64 s[52:53], s[44:45], 3
	s_add_nc_u64 s[54:55], s[10:11], s[52:53]
	s_add_nc_u64 s[52:53], s[6:7], s[52:53]
	s_clause 0x1
	global_load_b64 v[10:11], v24, s[54:55] offset:-8
	global_load_b64 v[20:21], v24, s[52:53] offset:-8
	s_wait_loadcnt 0x1
	v_add_f64_e32 v[18:19], v[16:17], v[10:11]
	s_delay_alu instid0(VALU_DEP_1) | instskip(SKIP_2) | instid1(VALU_DEP_3)
	v_div_scale_f64 v[12:13], null, v[18:19], v[18:19], v[16:17]
	v_div_scale_f64 v[22:23], null, v[18:19], v[18:19], v[10:11]
	v_div_scale_f64 v[34:35], vcc_lo, v[16:17], v[18:19], v[16:17]
	v_rcp_f64_e32 v[26:27], v[12:13]
	s_delay_alu instid0(VALU_DEP_2) | instskip(NEXT) | instid1(TRANS32_DEP_2)
	v_rcp_f64_e32 v[28:29], v[22:23]
	v_fma_f64 v[30:31], -v[12:13], v[26:27], 1.0
	s_delay_alu instid0(TRANS32_DEP_1) | instskip(NEXT) | instid1(VALU_DEP_2)
	v_fma_f64 v[32:33], -v[22:23], v[28:29], 1.0
	v_fmac_f64_e32 v[26:27], v[26:27], v[30:31]
	s_delay_alu instid0(VALU_DEP_2) | instskip(NEXT) | instid1(VALU_DEP_2)
	v_fmac_f64_e32 v[28:29], v[28:29], v[32:33]
	v_fma_f64 v[30:31], -v[12:13], v[26:27], 1.0
	s_delay_alu instid0(VALU_DEP_2) | instskip(NEXT) | instid1(VALU_DEP_2)
	v_fma_f64 v[32:33], -v[22:23], v[28:29], 1.0
	v_fmac_f64_e32 v[26:27], v[26:27], v[30:31]
	v_div_scale_f64 v[30:31], s4, v[10:11], v[18:19], v[10:11]
	s_delay_alu instid0(VALU_DEP_3) | instskip(NEXT) | instid1(VALU_DEP_3)
	v_fmac_f64_e32 v[28:29], v[28:29], v[32:33]
	v_mul_f64_e32 v[32:33], v[34:35], v[26:27]
	s_delay_alu instid0(VALU_DEP_2) | instskip(NEXT) | instid1(VALU_DEP_2)
	v_mul_f64_e32 v[36:37], v[30:31], v[28:29]
	v_fma_f64 v[12:13], -v[12:13], v[32:33], v[34:35]
	s_delay_alu instid0(VALU_DEP_2) | instskip(NEXT) | instid1(VALU_DEP_2)
	v_fma_f64 v[22:23], -v[22:23], v[36:37], v[30:31]
	v_div_fmas_f64 v[26:27], v[12:13], v[26:27], v[32:33]
	s_mov_b32 vcc_lo, s4
	s_delay_alu instid0(VALU_DEP_2) | instskip(SKIP_2) | instid1(VALU_DEP_3)
	v_div_fmas_f64 v[12:13], v[22:23], v[28:29], v[36:37]
	s_wait_loadcnt 0x0
	v_add_f64_e64 v[22:23], v[20:21], -v[8:9]
	v_div_fixup_f64 v[16:17], v[26:27], v[18:19], v[16:17]
	s_delay_alu instid0(VALU_DEP_3) | instskip(NEXT) | instid1(VALU_DEP_2)
	v_div_fixup_f64 v[12:13], v[12:13], v[18:19], v[10:11]
	v_cmp_eq_f64_e32 vcc_lo, 0, v[16:17]
	s_delay_alu instid0(VALU_DEP_2) | instskip(SKIP_1) | instid1(VALU_DEP_1)
	v_mul_f64_e32 v[18:19], v[14:15], v[12:13]
	s_and_b32 vcc_lo, exec_lo, vcc_lo
	v_fma_f64 v[18:19], v[16:17], v[22:23], -v[18:19]
	s_delay_alu instid0(VALU_DEP_1) | instskip(NEXT) | instid1(VALU_DEP_1)
	v_add_f64_e64 v[20:21], v[20:21], -v[18:19]
	v_add_f64_e32 v[14:15], v[14:15], v[20:21]
	global_store_b64 v24, v[14:15], s[52:53]
	s_cbranch_vccnz .LBB2_66
; %bb.65:                               ;   in Loop: Header=BB2_54 Depth=2
	v_mul_f64_e32 v[10:11], v[18:19], v[18:19]
	s_wait_xcnt 0x0
	s_delay_alu instid0(VALU_DEP_1) | instskip(NEXT) | instid1(VALU_DEP_1)
	v_div_scale_f64 v[14:15], null, v[16:17], v[16:17], v[10:11]
	v_rcp_f64_e32 v[20:21], v[14:15]
	v_nop
	s_delay_alu instid0(TRANS32_DEP_1) | instskip(NEXT) | instid1(VALU_DEP_1)
	v_fma_f64 v[22:23], -v[14:15], v[20:21], 1.0
	v_fmac_f64_e32 v[20:21], v[20:21], v[22:23]
	s_delay_alu instid0(VALU_DEP_1) | instskip(NEXT) | instid1(VALU_DEP_1)
	v_fma_f64 v[22:23], -v[14:15], v[20:21], 1.0
	v_fmac_f64_e32 v[20:21], v[20:21], v[22:23]
	v_div_scale_f64 v[22:23], vcc_lo, v[10:11], v[16:17], v[10:11]
	s_delay_alu instid0(VALU_DEP_1) | instskip(NEXT) | instid1(VALU_DEP_1)
	v_mul_f64_e32 v[26:27], v[22:23], v[20:21]
	v_fma_f64 v[14:15], -v[14:15], v[26:27], v[22:23]
	s_delay_alu instid0(VALU_DEP_1) | instskip(NEXT) | instid1(VALU_DEP_1)
	v_div_fmas_f64 v[14:15], v[14:15], v[20:21], v[26:27]
	v_div_fixup_f64 v[10:11], v[14:15], v[16:17], v[10:11]
.LBB2_66:                               ;   in Loop: Header=BB2_54 Depth=2
	s_add_co_i32 s4, s44, -1
	s_delay_alu instid0(SALU_CYCLE_1)
	s_cmp_le_i32 s4, s42
	s_cbranch_scc1 .LBB2_95
; %bb.67:                               ;   in Loop: Header=BB2_54 Depth=2
	s_wait_xcnt 0x0
	s_add_co_i32 s52, s44, -2
	s_mov_b32 s43, -1
	s_ashr_i32 s53, s52, 31
	s_delay_alu instid0(SALU_CYCLE_1) | instskip(NEXT) | instid1(SALU_CYCLE_1)
	s_lshl_b64 s[54:55], s[52:53], 3
	s_add_nc_u64 s[52:53], s[24:25], s[54:55]
	s_add_nc_u64 s[54:55], s[26:27], s[54:55]
	global_load_b64 v[20:21], v24, s[54:55] offset:-8
	s_cmp_eq_u32 s43, 0
	s_wait_loadcnt 0x0
	v_add_f64_e32 v[14:15], v[10:11], v[20:21]
	s_cbranch_scc1 .LBB2_69
.LBB2_68:                               ;   in Loop: Header=BB2_54 Depth=2
	s_delay_alu instid0(VALU_DEP_1)
	v_mul_f64_e32 v[12:13], v[12:13], v[14:15]
	global_store_b64 v24, v[12:13], s[54:55]
.LBB2_69:                               ;   Parent Loop BB2_3 Depth=1
                                        ;     Parent Loop BB2_54 Depth=2
                                        ; =>    This Inner Loop Header: Depth=3
	s_wait_xcnt 0x0
	s_delay_alu instid0(VALU_DEP_1)
	v_div_scale_f64 v[12:13], null, v[14:15], v[14:15], v[10:11]
	v_div_scale_f64 v[22:23], null, v[14:15], v[14:15], v[20:21]
	global_load_b64 v[26:27], v24, s[52:53] offset:-8
	v_div_scale_f64 v[36:37], vcc_lo, v[10:11], v[14:15], v[10:11]
	v_rcp_f64_e32 v[28:29], v[12:13]
	v_rcp_f64_e32 v[30:31], v[22:23]
	s_delay_alu instid0(TRANS32_DEP_2) | instskip(NEXT) | instid1(TRANS32_DEP_1)
	v_fma_f64 v[32:33], -v[12:13], v[28:29], 1.0
	v_fma_f64 v[34:35], -v[22:23], v[30:31], 1.0
	s_delay_alu instid0(VALU_DEP_2) | instskip(NEXT) | instid1(VALU_DEP_2)
	v_fmac_f64_e32 v[28:29], v[28:29], v[32:33]
	v_fmac_f64_e32 v[30:31], v[30:31], v[34:35]
	s_delay_alu instid0(VALU_DEP_2) | instskip(NEXT) | instid1(VALU_DEP_2)
	v_fma_f64 v[32:33], -v[12:13], v[28:29], 1.0
	v_fma_f64 v[34:35], -v[22:23], v[30:31], 1.0
	s_delay_alu instid0(VALU_DEP_2) | instskip(SKIP_1) | instid1(VALU_DEP_3)
	v_fmac_f64_e32 v[28:29], v[28:29], v[32:33]
	v_div_scale_f64 v[32:33], s4, v[20:21], v[14:15], v[20:21]
	v_fmac_f64_e32 v[30:31], v[30:31], v[34:35]
	s_delay_alu instid0(VALU_DEP_3) | instskip(NEXT) | instid1(VALU_DEP_2)
	v_mul_f64_e32 v[34:35], v[36:37], v[28:29]
	v_mul_f64_e32 v[38:39], v[32:33], v[30:31]
	s_delay_alu instid0(VALU_DEP_2) | instskip(NEXT) | instid1(VALU_DEP_2)
	v_fma_f64 v[12:13], -v[12:13], v[34:35], v[36:37]
	v_fma_f64 v[22:23], -v[22:23], v[38:39], v[32:33]
	s_delay_alu instid0(VALU_DEP_2) | instskip(SKIP_1) | instid1(VALU_DEP_2)
	v_div_fmas_f64 v[28:29], v[12:13], v[28:29], v[34:35]
	s_mov_b32 vcc_lo, s4
	v_div_fmas_f64 v[12:13], v[22:23], v[30:31], v[38:39]
	s_delay_alu instid0(VALU_DEP_2) | instskip(NEXT) | instid1(VALU_DEP_2)
	v_div_fixup_f64 v[22:23], v[28:29], v[14:15], v[10:11]
	v_div_fixup_f64 v[12:13], v[12:13], v[14:15], v[20:21]
	s_wait_loadcnt 0x0
	v_add_f64_e64 v[10:11], v[26:27], -v[8:9]
	s_delay_alu instid0(VALU_DEP_3) | instskip(NEXT) | instid1(VALU_DEP_3)
	v_cmp_eq_f64_e32 vcc_lo, 0, v[22:23]
	v_mul_f64_e32 v[14:15], v[18:19], v[12:13]
	s_and_b32 vcc_lo, exec_lo, vcc_lo
	s_delay_alu instid0(VALU_DEP_1) | instskip(NEXT) | instid1(VALU_DEP_1)
	v_fma_f64 v[14:15], v[22:23], v[10:11], -v[14:15]
	v_add_f64_e64 v[10:11], v[26:27], -v[14:15]
	s_delay_alu instid0(VALU_DEP_1)
	v_add_f64_e32 v[10:11], v[18:19], v[10:11]
	global_store_b64 v24, v[10:11], s[52:53]
	s_cbranch_vccz .LBB2_74
; %bb.70:                               ;   in Loop: Header=BB2_69 Depth=3
	s_wait_xcnt 0x0
	v_mul_f64_e32 v[10:11], v[16:17], v[20:21]
	s_cbranch_execnz .LBB2_72
.LBB2_71:                               ;   in Loop: Header=BB2_69 Depth=3
	s_wait_xcnt 0x0
	v_mul_f64_e32 v[10:11], v[14:15], v[14:15]
	s_delay_alu instid0(VALU_DEP_1) | instskip(NEXT) | instid1(VALU_DEP_1)
	v_div_scale_f64 v[16:17], null, v[22:23], v[22:23], v[10:11]
	v_rcp_f64_e32 v[18:19], v[16:17]
	v_nop
	s_delay_alu instid0(TRANS32_DEP_1) | instskip(NEXT) | instid1(VALU_DEP_1)
	v_fma_f64 v[20:21], -v[16:17], v[18:19], 1.0
	v_fmac_f64_e32 v[18:19], v[18:19], v[20:21]
	s_delay_alu instid0(VALU_DEP_1) | instskip(NEXT) | instid1(VALU_DEP_1)
	v_fma_f64 v[20:21], -v[16:17], v[18:19], 1.0
	v_fmac_f64_e32 v[18:19], v[18:19], v[20:21]
	v_div_scale_f64 v[20:21], vcc_lo, v[10:11], v[22:23], v[10:11]
	s_delay_alu instid0(VALU_DEP_1) | instskip(NEXT) | instid1(VALU_DEP_1)
	v_mul_f64_e32 v[26:27], v[20:21], v[18:19]
	v_fma_f64 v[16:17], -v[16:17], v[26:27], v[20:21]
	s_delay_alu instid0(VALU_DEP_1) | instskip(NEXT) | instid1(VALU_DEP_1)
	v_div_fmas_f64 v[16:17], v[16:17], v[18:19], v[26:27]
	v_div_fixup_f64 v[10:11], v[16:17], v[22:23], v[10:11]
.LBB2_72:                               ;   in Loop: Header=BB2_69 Depth=3
	s_add_co_i32 s43, s43, -1
	s_add_nc_u64 s[54:55], s[54:55], -8
	s_add_co_i32 s4, s44, s43
	s_wait_xcnt 0x0
	s_add_nc_u64 s[52:53], s[52:53], -8
	s_cmp_le_i32 s4, s42
	s_cbranch_scc1 .LBB2_96
; %bb.73:                               ;   in Loop: Header=BB2_69 Depth=3
	v_mov_b64_e32 v[16:17], v[22:23]
	v_mov_b64_e32 v[18:19], v[14:15]
	global_load_b64 v[20:21], v24, s[54:55] offset:-8
	s_cmp_eq_u32 s43, 0
	s_wait_loadcnt 0x0
	v_add_f64_e32 v[14:15], v[10:11], v[20:21]
	s_cbranch_scc0 .LBB2_68
	s_branch .LBB2_69
.LBB2_74:                               ;   in Loop: Header=BB2_69 Depth=3
                                        ; implicit-def: $vgpr10_vgpr11
	s_branch .LBB2_71
.LBB2_75:                               ;   in Loop: Header=BB2_54 Depth=2
	s_mov_b32 s42, s4
	s_cbranch_execz .LBB2_53
	s_branch .LBB2_99
.LBB2_76:                               ;   in Loop: Header=BB2_54 Depth=2
	s_mov_b32 s41, -1
	s_mov_b32 s4, 0
                                        ; implicit-def: $sgpr43
.LBB2_77:                               ;   in Loop: Header=BB2_54 Depth=2
	s_and_b32 vcc_lo, exec_lo, s41
	s_cbranch_vccz .LBB2_98
.LBB2_78:                               ;   in Loop: Header=BB2_54 Depth=2
	s_add_nc_u64 s[48:49], s[10:11], s[48:49]
	global_load_b64 v[8:9], v24, s[48:49]
	s_wait_loadcnt 0x0
	v_cmp_gt_f64_e32 vcc_lo, 0x10000000, v[8:9]
	s_and_b32 s4, vcc_lo, exec_lo
	s_cselect_b32 s4, 0x100, 0
	s_delay_alu instid0(SALU_CYCLE_1) | instskip(SKIP_1) | instid1(VALU_DEP_1)
	v_ldexp_f64 v[8:9], v[8:9], s4
	s_cselect_b32 s4, 0xffffff80, 0
	v_rsq_f64_e32 v[12:13], v[8:9]
	v_mov_b32_e32 v10, s44
	v_cmp_class_f64_e64 vcc_lo, v[8:9], 0x260
	s_delay_alu instid0(TRANS32_DEP_1) | instskip(SKIP_2) | instid1(VALU_DEP_1)
	v_mul_f64_e32 v[14:15], v[8:9], v[12:13]
	global_load_b64 v[10:11], v10, s[6:7] scale_offset
	v_mul_f64_e32 v[12:13], 0.5, v[12:13]
	v_fma_f64 v[16:17], -v[12:13], v[14:15], 0.5
	s_delay_alu instid0(VALU_DEP_1) | instskip(SKIP_1) | instid1(VALU_DEP_2)
	v_fmac_f64_e32 v[14:15], v[14:15], v[16:17]
	v_fmac_f64_e32 v[12:13], v[12:13], v[16:17]
	v_fma_f64 v[16:17], -v[14:15], v[14:15], v[8:9]
	s_delay_alu instid0(VALU_DEP_1) | instskip(NEXT) | instid1(VALU_DEP_1)
	v_fmac_f64_e32 v[14:15], v[16:17], v[12:13]
	v_fma_f64 v[16:17], -v[14:15], v[14:15], v[8:9]
	s_delay_alu instid0(VALU_DEP_1) | instskip(NEXT) | instid1(VALU_DEP_1)
	v_fmac_f64_e32 v[14:15], v[16:17], v[12:13]
	v_ldexp_f64 v[12:13], v[14:15], s4
	s_delay_alu instid0(VALU_DEP_1) | instskip(NEXT) | instid1(VALU_DEP_1)
	v_dual_cndmask_b32 v9, v13, v9 :: v_dual_cndmask_b32 v8, v12, v8
	v_add_f64_e32 v[16:17], v[8:9], v[8:9]
	s_wait_loadcnt 0x0
	v_add_f64_e64 v[14:15], v[6:7], -v[10:11]
	s_delay_alu instid0(VALU_DEP_1)
	v_cmp_ngt_f64_e64 s4, |v[14:15]|, |v[16:17]|
	s_and_b32 vcc_lo, exec_lo, s4
	s_cbranch_vccz .LBB2_81
; %bb.79:                               ;   in Loop: Header=BB2_54 Depth=2
	v_cmp_nlt_f64_e64 s4, |v[14:15]|, |v[16:17]|
	s_and_b32 vcc_lo, exec_lo, s4
	s_cbranch_vccz .LBB2_82
; %bb.80:                               ;   in Loop: Header=BB2_54 Depth=2
	v_mul_f64_e64 v[12:13], |v[16:17]|, s[20:21]
	s_cbranch_execz .LBB2_83
	s_branch .LBB2_84
.LBB2_81:                               ;   in Loop: Header=BB2_54 Depth=2
                                        ; implicit-def: $vgpr12_vgpr13
	s_branch .LBB2_85
.LBB2_82:                               ;   in Loop: Header=BB2_54 Depth=2
                                        ; implicit-def: $vgpr12_vgpr13
.LBB2_83:                               ;   in Loop: Header=BB2_54 Depth=2
	v_and_b32_e32 v13, 0x7fffffff, v15
	v_dual_mov_b32 v12, v14 :: v_dual_mov_b32 v18, v16
	v_and_b32_e32 v19, 0x7fffffff, v17
	s_delay_alu instid0(VALU_DEP_1) | instskip(SKIP_1) | instid1(VALU_DEP_2)
	v_div_scale_f64 v[20:21], null, v[18:19], v[18:19], v[12:13]
	v_div_scale_f64 v[12:13], vcc_lo, v[12:13], v[18:19], v[12:13]
	v_rcp_f64_e32 v[22:23], v[20:21]
	v_nop
	s_delay_alu instid0(TRANS32_DEP_1) | instskip(NEXT) | instid1(VALU_DEP_1)
	v_fma_f64 v[26:27], -v[20:21], v[22:23], 1.0
	v_fmac_f64_e32 v[22:23], v[22:23], v[26:27]
	s_delay_alu instid0(VALU_DEP_1) | instskip(NEXT) | instid1(VALU_DEP_1)
	v_fma_f64 v[26:27], -v[20:21], v[22:23], 1.0
	v_fmac_f64_e32 v[22:23], v[22:23], v[26:27]
	s_delay_alu instid0(VALU_DEP_1) | instskip(NEXT) | instid1(VALU_DEP_1)
	v_mul_f64_e32 v[18:19], v[12:13], v[22:23]
	v_fma_f64 v[12:13], -v[20:21], v[18:19], v[12:13]
	s_delay_alu instid0(VALU_DEP_1) | instskip(NEXT) | instid1(VALU_DEP_1)
	v_div_fmas_f64 v[12:13], v[12:13], v[22:23], v[18:19]
	v_div_fixup_f64 v[12:13], v[12:13], |v[16:17]|, |v[14:15]|
	s_delay_alu instid0(VALU_DEP_1) | instskip(NEXT) | instid1(VALU_DEP_1)
	v_fma_f64 v[12:13], v[12:13], v[12:13], 1.0
	v_cmp_gt_f64_e32 vcc_lo, 0x10000000, v[12:13]
	s_and_b32 s4, vcc_lo, exec_lo
	s_cselect_b32 s4, 0x100, 0
	s_delay_alu instid0(SALU_CYCLE_1) | instskip(SKIP_1) | instid1(VALU_DEP_1)
	v_ldexp_f64 v[12:13], v[12:13], s4
	s_cselect_b32 s4, 0xffffff80, 0
	v_rsq_f64_e32 v[18:19], v[12:13]
	v_cmp_class_f64_e64 vcc_lo, v[12:13], 0x260
	s_delay_alu instid0(TRANS32_DEP_1) | instskip(SKIP_1) | instid1(VALU_DEP_1)
	v_mul_f64_e32 v[20:21], v[12:13], v[18:19]
	v_mul_f64_e32 v[18:19], 0.5, v[18:19]
	v_fma_f64 v[22:23], -v[18:19], v[20:21], 0.5
	s_delay_alu instid0(VALU_DEP_1) | instskip(SKIP_1) | instid1(VALU_DEP_2)
	v_fmac_f64_e32 v[20:21], v[20:21], v[22:23]
	v_fmac_f64_e32 v[18:19], v[18:19], v[22:23]
	v_fma_f64 v[22:23], -v[20:21], v[20:21], v[12:13]
	s_delay_alu instid0(VALU_DEP_1) | instskip(NEXT) | instid1(VALU_DEP_1)
	v_fmac_f64_e32 v[20:21], v[22:23], v[18:19]
	v_fma_f64 v[22:23], -v[20:21], v[20:21], v[12:13]
	s_delay_alu instid0(VALU_DEP_1) | instskip(NEXT) | instid1(VALU_DEP_1)
	v_fmac_f64_e32 v[20:21], v[22:23], v[18:19]
	v_ldexp_f64 v[18:19], v[20:21], s4
	s_delay_alu instid0(VALU_DEP_1) | instskip(NEXT) | instid1(VALU_DEP_1)
	v_dual_cndmask_b32 v13, v19, v13 :: v_dual_cndmask_b32 v12, v18, v12
	v_mul_f64_e64 v[12:13], |v[16:17]|, v[12:13]
.LBB2_84:                               ;   in Loop: Header=BB2_54 Depth=2
	s_cbranch_execnz .LBB2_86
.LBB2_85:                               ;   in Loop: Header=BB2_54 Depth=2
	v_and_b32_e32 v13, 0x7fffffff, v17
	v_dual_mov_b32 v12, v16 :: v_dual_mov_b32 v18, v14
	v_and_b32_e32 v19, 0x7fffffff, v15
	s_delay_alu instid0(VALU_DEP_1) | instskip(SKIP_1) | instid1(VALU_DEP_2)
	v_div_scale_f64 v[20:21], null, v[18:19], v[18:19], v[12:13]
	v_div_scale_f64 v[12:13], vcc_lo, v[12:13], v[18:19], v[12:13]
	v_rcp_f64_e32 v[22:23], v[20:21]
	v_nop
	s_delay_alu instid0(TRANS32_DEP_1) | instskip(NEXT) | instid1(VALU_DEP_1)
	v_fma_f64 v[26:27], -v[20:21], v[22:23], 1.0
	v_fmac_f64_e32 v[22:23], v[22:23], v[26:27]
	s_delay_alu instid0(VALU_DEP_1) | instskip(NEXT) | instid1(VALU_DEP_1)
	v_fma_f64 v[26:27], -v[20:21], v[22:23], 1.0
	v_fmac_f64_e32 v[22:23], v[22:23], v[26:27]
	s_delay_alu instid0(VALU_DEP_1) | instskip(NEXT) | instid1(VALU_DEP_1)
	v_mul_f64_e32 v[18:19], v[12:13], v[22:23]
	v_fma_f64 v[12:13], -v[20:21], v[18:19], v[12:13]
	s_delay_alu instid0(VALU_DEP_1) | instskip(NEXT) | instid1(VALU_DEP_1)
	v_div_fmas_f64 v[12:13], v[12:13], v[22:23], v[18:19]
	v_div_fixup_f64 v[12:13], v[12:13], |v[14:15]|, |v[16:17]|
	s_delay_alu instid0(VALU_DEP_1) | instskip(NEXT) | instid1(VALU_DEP_1)
	v_fma_f64 v[12:13], v[12:13], v[12:13], 1.0
	v_cmp_gt_f64_e32 vcc_lo, 0x10000000, v[12:13]
	s_and_b32 s4, vcc_lo, exec_lo
	s_cselect_b32 s4, 0x100, 0
	s_delay_alu instid0(SALU_CYCLE_1) | instskip(SKIP_1) | instid1(VALU_DEP_1)
	v_ldexp_f64 v[12:13], v[12:13], s4
	s_cselect_b32 s4, 0xffffff80, 0
	v_rsq_f64_e32 v[16:17], v[12:13]
	v_cmp_class_f64_e64 vcc_lo, v[12:13], 0x260
	s_delay_alu instid0(TRANS32_DEP_1) | instskip(SKIP_1) | instid1(VALU_DEP_1)
	v_mul_f64_e32 v[18:19], v[12:13], v[16:17]
	v_mul_f64_e32 v[16:17], 0.5, v[16:17]
	v_fma_f64 v[20:21], -v[16:17], v[18:19], 0.5
	s_delay_alu instid0(VALU_DEP_1) | instskip(SKIP_1) | instid1(VALU_DEP_2)
	v_fmac_f64_e32 v[18:19], v[18:19], v[20:21]
	v_fmac_f64_e32 v[16:17], v[16:17], v[20:21]
	v_fma_f64 v[20:21], -v[18:19], v[18:19], v[12:13]
	s_delay_alu instid0(VALU_DEP_1) | instskip(NEXT) | instid1(VALU_DEP_1)
	v_fmac_f64_e32 v[18:19], v[20:21], v[16:17]
	v_fma_f64 v[20:21], -v[18:19], v[18:19], v[12:13]
	s_delay_alu instid0(VALU_DEP_1) | instskip(NEXT) | instid1(VALU_DEP_1)
	v_fmac_f64_e32 v[18:19], v[20:21], v[16:17]
	v_ldexp_f64 v[16:17], v[18:19], s4
	s_delay_alu instid0(VALU_DEP_1) | instskip(NEXT) | instid1(VALU_DEP_1)
	v_dual_cndmask_b32 v13, v17, v13 :: v_dual_cndmask_b32 v12, v16, v12
	v_mul_f64_e64 v[12:13], |v[14:15]|, v[12:13]
.LBB2_86:                               ;   in Loop: Header=BB2_54 Depth=2
	v_add_f64_e32 v[16:17], v[6:7], v[10:11]
	v_cmp_gt_f64_e64 vcc_lo, |v[6:7]|, |v[10:11]|
	s_delay_alu instid0(VALU_DEP_2)
	v_cmp_ngt_f64_e64 s4, 0, v[16:17]
	v_dual_cndmask_b32 v15, v7, v11 :: v_dual_cndmask_b32 v14, v6, v10
	v_dual_cndmask_b32 v7, v11, v7 :: v_dual_cndmask_b32 v6, v10, v6
	s_and_b32 vcc_lo, exec_lo, s4
	s_cbranch_vccz .LBB2_89
; %bb.87:                               ;   in Loop: Header=BB2_54 Depth=2
	v_cmp_nlt_f64_e32 vcc_lo, 0, v[16:17]
	s_cbranch_vccz .LBB2_90
; %bb.88:                               ;   in Loop: Header=BB2_54 Depth=2
	s_wait_xcnt 0x0
	v_mul_f64_e32 v[10:11], 0.5, v[12:13]
	v_mul_f64_e32 v[18:19], -0.5, v[12:13]
	s_cbranch_execz .LBB2_91
	s_branch .LBB2_92
.LBB2_89:                               ;   in Loop: Header=BB2_54 Depth=2
                                        ; implicit-def: $vgpr18_vgpr19
                                        ; implicit-def: $vgpr10_vgpr11
	s_branch .LBB2_93
.LBB2_90:                               ;   in Loop: Header=BB2_54 Depth=2
                                        ; implicit-def: $vgpr18_vgpr19
                                        ; implicit-def: $vgpr10_vgpr11
.LBB2_91:                               ;   in Loop: Header=BB2_54 Depth=2
	s_wait_xcnt 0x0
	v_add_f64_e32 v[10:11], v[16:17], v[12:13]
	s_delay_alu instid0(VALU_DEP_1) | instskip(NEXT) | instid1(VALU_DEP_1)
	v_mul_f64_e32 v[10:11], 0.5, v[10:11]
	v_div_scale_f64 v[18:19], null, v[10:11], v[10:11], v[6:7]
	v_div_scale_f64 v[20:21], null, v[10:11], v[10:11], v[8:9]
	v_div_scale_f64 v[32:33], vcc_lo, v[6:7], v[10:11], v[6:7]
	s_delay_alu instid0(VALU_DEP_3) | instskip(NEXT) | instid1(VALU_DEP_2)
	v_rcp_f64_e32 v[22:23], v[18:19]
	v_rcp_f64_e32 v[26:27], v[20:21]
	s_delay_alu instid0(TRANS32_DEP_2) | instskip(NEXT) | instid1(TRANS32_DEP_1)
	v_fma_f64 v[28:29], -v[18:19], v[22:23], 1.0
	v_fma_f64 v[30:31], -v[20:21], v[26:27], 1.0
	s_delay_alu instid0(VALU_DEP_2) | instskip(NEXT) | instid1(VALU_DEP_2)
	v_fmac_f64_e32 v[22:23], v[22:23], v[28:29]
	v_fmac_f64_e32 v[26:27], v[26:27], v[30:31]
	s_delay_alu instid0(VALU_DEP_2) | instskip(NEXT) | instid1(VALU_DEP_2)
	v_fma_f64 v[28:29], -v[18:19], v[22:23], 1.0
	v_fma_f64 v[30:31], -v[20:21], v[26:27], 1.0
	s_delay_alu instid0(VALU_DEP_2) | instskip(SKIP_1) | instid1(VALU_DEP_3)
	v_fmac_f64_e32 v[22:23], v[22:23], v[28:29]
	v_div_scale_f64 v[28:29], s4, v[8:9], v[10:11], v[8:9]
	v_fmac_f64_e32 v[26:27], v[26:27], v[30:31]
	s_delay_alu instid0(VALU_DEP_3) | instskip(NEXT) | instid1(VALU_DEP_2)
	v_mul_f64_e32 v[30:31], v[32:33], v[22:23]
	v_mul_f64_e32 v[34:35], v[28:29], v[26:27]
	s_delay_alu instid0(VALU_DEP_2) | instskip(NEXT) | instid1(VALU_DEP_2)
	v_fma_f64 v[18:19], -v[18:19], v[30:31], v[32:33]
	v_fma_f64 v[20:21], -v[20:21], v[34:35], v[28:29]
	s_delay_alu instid0(VALU_DEP_2) | instskip(SKIP_1) | instid1(VALU_DEP_2)
	v_div_fmas_f64 v[18:19], v[18:19], v[22:23], v[30:31]
	s_mov_b32 vcc_lo, s4
	v_div_fmas_f64 v[20:21], v[20:21], v[26:27], v[34:35]
	s_delay_alu instid0(VALU_DEP_2) | instskip(NEXT) | instid1(VALU_DEP_2)
	v_div_fixup_f64 v[18:19], v[18:19], v[10:11], v[6:7]
	v_div_fixup_f64 v[20:21], v[20:21], v[10:11], v[8:9]
	s_delay_alu instid0(VALU_DEP_1) | instskip(NEXT) | instid1(VALU_DEP_1)
	v_mul_f64_e32 v[20:21], v[8:9], v[20:21]
	v_fma_f64 v[18:19], v[14:15], v[18:19], -v[20:21]
.LBB2_92:                               ;   in Loop: Header=BB2_54 Depth=2
	s_cbranch_execnz .LBB2_94
.LBB2_93:                               ;   in Loop: Header=BB2_54 Depth=2
	s_wait_xcnt 0x0
	v_add_f64_e64 v[10:11], v[16:17], -v[12:13]
	s_delay_alu instid0(VALU_DEP_1) | instskip(NEXT) | instid1(VALU_DEP_1)
	v_mul_f64_e32 v[10:11], 0.5, v[10:11]
	v_div_scale_f64 v[12:13], null, v[10:11], v[10:11], v[6:7]
	v_div_scale_f64 v[16:17], null, v[10:11], v[10:11], v[8:9]
	v_div_scale_f64 v[28:29], vcc_lo, v[6:7], v[10:11], v[6:7]
	s_delay_alu instid0(VALU_DEP_3) | instskip(NEXT) | instid1(VALU_DEP_2)
	v_rcp_f64_e32 v[18:19], v[12:13]
	v_rcp_f64_e32 v[20:21], v[16:17]
	s_delay_alu instid0(TRANS32_DEP_2) | instskip(NEXT) | instid1(TRANS32_DEP_1)
	v_fma_f64 v[22:23], -v[12:13], v[18:19], 1.0
	v_fma_f64 v[26:27], -v[16:17], v[20:21], 1.0
	s_delay_alu instid0(VALU_DEP_2) | instskip(NEXT) | instid1(VALU_DEP_2)
	v_fmac_f64_e32 v[18:19], v[18:19], v[22:23]
	v_fmac_f64_e32 v[20:21], v[20:21], v[26:27]
	s_delay_alu instid0(VALU_DEP_2) | instskip(NEXT) | instid1(VALU_DEP_2)
	v_fma_f64 v[22:23], -v[12:13], v[18:19], 1.0
	v_fma_f64 v[26:27], -v[16:17], v[20:21], 1.0
	s_delay_alu instid0(VALU_DEP_2) | instskip(SKIP_1) | instid1(VALU_DEP_3)
	v_fmac_f64_e32 v[18:19], v[18:19], v[22:23]
	v_div_scale_f64 v[22:23], s4, v[8:9], v[10:11], v[8:9]
	v_fmac_f64_e32 v[20:21], v[20:21], v[26:27]
	s_delay_alu instid0(VALU_DEP_3) | instskip(NEXT) | instid1(VALU_DEP_2)
	v_mul_f64_e32 v[26:27], v[28:29], v[18:19]
	v_mul_f64_e32 v[30:31], v[22:23], v[20:21]
	s_delay_alu instid0(VALU_DEP_2) | instskip(NEXT) | instid1(VALU_DEP_2)
	v_fma_f64 v[12:13], -v[12:13], v[26:27], v[28:29]
	v_fma_f64 v[16:17], -v[16:17], v[30:31], v[22:23]
	s_delay_alu instid0(VALU_DEP_2) | instskip(SKIP_1) | instid1(VALU_DEP_2)
	v_div_fmas_f64 v[12:13], v[12:13], v[18:19], v[26:27]
	s_mov_b32 vcc_lo, s4
	v_div_fmas_f64 v[16:17], v[16:17], v[20:21], v[30:31]
	s_delay_alu instid0(VALU_DEP_2) | instskip(NEXT) | instid1(VALU_DEP_2)
	v_div_fixup_f64 v[6:7], v[12:13], v[10:11], v[6:7]
	v_div_fixup_f64 v[16:17], v[16:17], v[10:11], v[8:9]
	s_delay_alu instid0(VALU_DEP_1) | instskip(NEXT) | instid1(VALU_DEP_1)
	v_mul_f64_e32 v[8:9], v[8:9], v[16:17]
	v_fma_f64 v[18:19], v[14:15], v[6:7], -v[8:9]
.LBB2_94:                               ;   in Loop: Header=BB2_54 Depth=2
	s_ashr_i32 s45, s44, 31
	global_store_b64 v24, v[10:11], s[46:47]
	s_lshl_b64 s[44:45], s[44:45], 3
	s_add_co_i32 s42, s42, 2
	s_add_nc_u64 s[44:45], s[6:7], s[44:45]
	s_clause 0x1
	global_store_b64 v24, v[18:19], s[44:45]
	global_store_b64 v24, v[2:3], s[48:49]
	s_cbranch_execz .LBB2_53
	s_branch .LBB2_99
.LBB2_95:                               ;   in Loop: Header=BB2_54 Depth=2
	s_wait_xcnt 0x0
	v_mov_b64_e32 v[14:15], v[18:19]
.LBB2_96:                               ;   in Loop: Header=BB2_54 Depth=2
	s_delay_alu instid0(VALU_DEP_1)
	v_mov_b64_e32 v[16:17], v[10:11]
.LBB2_97:                               ;   in Loop: Header=BB2_54 Depth=2
	s_delay_alu instid0(VALU_DEP_1) | instskip(NEXT) | instid1(VALU_DEP_3)
	v_mul_f64_e32 v[10:11], v[12:13], v[16:17]
	v_add_f64_e32 v[8:9], v[8:9], v[14:15]
	s_add_co_i32 s43, s59, 1
	s_mov_b32 s4, -1
	s_clause 0x1
	global_store_b64 v24, v[10:11], s[50:51]
	global_store_b64 v24, v[8:9], s[46:47]
	s_and_b32 vcc_lo, exec_lo, s41
	s_cbranch_vccnz .LBB2_78
.LBB2_98:                               ;   in Loop: Header=BB2_54 Depth=2
	s_mov_b32 s59, s43
	s_and_b32 vcc_lo, exec_lo, s4
	s_cbranch_vccz .LBB2_53
.LBB2_99:                               ;   in Loop: Header=BB2_54 Depth=2
	s_cmp_gt_i32 s42, s31
	s_cselect_b32 s4, -1, 0
	s_cmp_ge_i32 s59, s56
	s_cselect_b32 s5, -1, 0
	s_delay_alu instid0(SALU_CYCLE_1)
	s_or_b32 s5, s4, s5
	s_branch .LBB2_53
.LBB2_100:                              ;   in Loop: Header=BB2_101 Depth=2
	s_and_not1_b32 vcc_lo, exec_lo, s41
	s_cbranch_vccz .LBB2_43
.LBB2_101:                              ;   Parent Loop BB2_3 Depth=1
                                        ; =>  This Loop Header: Depth=2
                                        ;       Child Loop BB2_103 Depth 3
                                        ;       Child Loop BB2_116 Depth 3
	s_ashr_i32 s41, s40, 31
	s_wait_xcnt 0x0
	s_min_i32 s4, s31, s40
	s_wait_xcnt 0x1
	s_lshl_b64 s[44:45], s[40:41], 3
	s_mov_b32 s3, s40
	s_wait_xcnt 0x0
	s_add_nc_u64 s[46:47], s[6:7], s[44:45]
	s_add_nc_u64 s[42:43], s[26:27], s[44:45]
	s_mov_b32 s5, -1
	s_cmp_le_i32 s3, s31
	s_mov_b32 s48, -1
                                        ; implicit-def: $sgpr41
	s_cbranch_scc1 .LBB2_103
.LBB2_102:                              ;   in Loop: Header=BB2_101 Depth=2
	s_wait_loadcnt 0x0
	s_clause 0x1
	global_load_b128 v[6:9], v24, s[46:47] offset:-8
	global_load_b64 v[10:11], v24, s[42:43] offset:-16
	s_add_co_i32 s41, s3, -1
	s_wait_xcnt 0x1
	s_add_nc_u64 s[46:47], s[46:47], -8
	s_wait_xcnt 0x0
	s_add_nc_u64 s[42:43], s[42:43], -8
	s_mov_b32 s5, 0
	s_wait_loadcnt 0x1
	v_mul_f64_e32 v[6:7], v[8:9], v[6:7]
	s_delay_alu instid0(VALU_DEP_1) | instskip(SKIP_1) | instid1(VALU_DEP_1)
	v_mul_f64_e64 v[6:7], v[0:1], |v[6:7]|
	s_wait_loadcnt 0x0
	v_cmp_le_f64_e64 s48, |v[10:11]|, v[6:7]
.LBB2_103:                              ;   Parent Loop BB2_3 Depth=1
                                        ;     Parent Loop BB2_101 Depth=2
                                        ; =>    This Inner Loop Header: Depth=3
	s_delay_alu instid0(VALU_DEP_1)
	s_and_not1_b32 vcc_lo, exec_lo, s48
	s_cbranch_vccz .LBB2_105
; %bb.104:                              ;   in Loop: Header=BB2_103 Depth=3
	s_mov_b32 s3, s41
	s_mov_b32 s5, -1
	s_cmp_le_i32 s3, s31
	s_mov_b32 s48, -1
                                        ; implicit-def: $sgpr41
	s_cbranch_scc0 .LBB2_102
	s_branch .LBB2_103
.LBB2_105:                              ;   in Loop: Header=BB2_101 Depth=2
	s_and_not1_b32 vcc_lo, exec_lo, s5
	s_cbranch_vccz .LBB2_107
; %bb.106:                              ;   in Loop: Header=BB2_101 Depth=2
	s_mov_b32 s4, s3
	global_store_b64 v24, v[2:3], s[42:43] offset:-8
.LBB2_107:                              ;   in Loop: Header=BB2_101 Depth=2
	s_add_co_i32 s3, s40, -1
	s_cmp_eq_u32 s4, s40
	s_mov_b32 s41, -1
	s_cbranch_scc1 .LBB2_122
; %bb.108:                              ;   in Loop: Header=BB2_101 Depth=2
	s_wait_xcnt 0x0
	s_add_nc_u64 s[42:43], s[6:7], s[44:45]
	s_cmp_lg_u32 s4, s3
	s_wait_loadcnt 0x0
	global_load_b64 v[6:7], v24, s[42:43]
	s_cbranch_scc0 .LBB2_123
; %bb.109:                              ;   in Loop: Header=BB2_101 Depth=2
	s_mov_b32 s50, 0
	s_cmp_lg_u32 s58, s56
	s_mov_b32 s5, s56
	s_mov_b32 s3, 0
	s_cbranch_scc0 .LBB2_124
; %bb.110:                              ;   in Loop: Header=BB2_101 Depth=2
	s_add_nc_u64 s[44:45], s[10:11], s[44:45]
	s_clause 0x1
	global_load_b64 v[8:9], v24, s[44:45] offset:-8
	global_load_b64 v[10:11], v24, s[42:43] offset:-8
	s_wait_loadcnt 0x1
	v_cmp_gt_f64_e32 vcc_lo, 0x10000000, v[8:9]
	s_wait_loadcnt 0x0
	v_add_f64_e64 v[10:11], v[10:11], -v[6:7]
	s_and_b32 s3, vcc_lo, exec_lo
	s_cselect_b32 s3, 0x100, 0
	s_delay_alu instid0(SALU_CYCLE_1) | instskip(SKIP_1) | instid1(VALU_DEP_1)
	v_ldexp_f64 v[8:9], v[8:9], s3
	s_cselect_b32 s3, 0xffffff80, 0
	v_rsq_f64_e32 v[12:13], v[8:9]
	v_cmp_class_f64_e64 vcc_lo, v[8:9], 0x260
	s_delay_alu instid0(TRANS32_DEP_1) | instskip(SKIP_1) | instid1(VALU_DEP_1)
	v_mul_f64_e32 v[14:15], v[8:9], v[12:13]
	v_mul_f64_e32 v[12:13], 0.5, v[12:13]
	v_fma_f64 v[16:17], -v[12:13], v[14:15], 0.5
	s_delay_alu instid0(VALU_DEP_1) | instskip(SKIP_1) | instid1(VALU_DEP_2)
	v_fmac_f64_e32 v[14:15], v[14:15], v[16:17]
	v_fmac_f64_e32 v[12:13], v[12:13], v[16:17]
	v_fma_f64 v[16:17], -v[14:15], v[14:15], v[8:9]
	s_delay_alu instid0(VALU_DEP_1) | instskip(NEXT) | instid1(VALU_DEP_1)
	v_fmac_f64_e32 v[14:15], v[16:17], v[12:13]
	v_fma_f64 v[16:17], -v[14:15], v[14:15], v[8:9]
	s_delay_alu instid0(VALU_DEP_1) | instskip(NEXT) | instid1(VALU_DEP_1)
	v_fmac_f64_e32 v[14:15], v[16:17], v[12:13]
	v_ldexp_f64 v[12:13], v[14:15], s3
	s_delay_alu instid0(VALU_DEP_1) | instskip(NEXT) | instid1(VALU_DEP_1)
	v_dual_cndmask_b32 v9, v13, v9 :: v_dual_cndmask_b32 v8, v12, v8
	v_add_f64_e32 v[12:13], v[8:9], v[8:9]
	s_delay_alu instid0(VALU_DEP_1) | instskip(SKIP_1) | instid1(VALU_DEP_2)
	v_div_scale_f64 v[14:15], null, v[12:13], v[12:13], v[10:11]
	v_div_scale_f64 v[20:21], vcc_lo, v[10:11], v[12:13], v[10:11]
	v_rcp_f64_e32 v[16:17], v[14:15]
	v_nop
	s_delay_alu instid0(TRANS32_DEP_1) | instskip(NEXT) | instid1(VALU_DEP_1)
	v_fma_f64 v[18:19], -v[14:15], v[16:17], 1.0
	v_fmac_f64_e32 v[16:17], v[16:17], v[18:19]
	s_delay_alu instid0(VALU_DEP_1) | instskip(NEXT) | instid1(VALU_DEP_1)
	v_fma_f64 v[18:19], -v[14:15], v[16:17], 1.0
	v_fmac_f64_e32 v[16:17], v[16:17], v[18:19]
	s_delay_alu instid0(VALU_DEP_1) | instskip(NEXT) | instid1(VALU_DEP_1)
	v_mul_f64_e32 v[18:19], v[20:21], v[16:17]
	v_fma_f64 v[14:15], -v[14:15], v[18:19], v[20:21]
	s_delay_alu instid0(VALU_DEP_1) | instskip(NEXT) | instid1(VALU_DEP_1)
	v_div_fmas_f64 v[14:15], v[14:15], v[16:17], v[18:19]
	v_div_fixup_f64 v[10:11], v[14:15], v[12:13], v[10:11]
	s_delay_alu instid0(VALU_DEP_1) | instskip(NEXT) | instid1(VALU_DEP_1)
	v_fma_f64 v[12:13], v[10:11], v[10:11], 1.0
	v_cmp_gt_f64_e32 vcc_lo, 0x10000000, v[12:13]
	s_and_b32 s3, vcc_lo, exec_lo
	s_cselect_b32 s3, 0x100, 0
	s_delay_alu instid0(SALU_CYCLE_1) | instskip(SKIP_2) | instid1(VALU_DEP_1)
	v_ldexp_f64 v[12:13], v[12:13], s3
	s_cselect_b32 s3, 0xffffff80, 0
	s_cmp_ge_i32 s4, s40
	v_rsq_f64_e32 v[14:15], v[12:13]
	v_cmp_class_f64_e64 vcc_lo, v[12:13], 0x260
	s_delay_alu instid0(TRANS32_DEP_1) | instskip(SKIP_1) | instid1(VALU_DEP_1)
	v_mul_f64_e32 v[16:17], v[12:13], v[14:15]
	v_mul_f64_e32 v[14:15], 0.5, v[14:15]
	v_fma_f64 v[18:19], -v[14:15], v[16:17], 0.5
	s_delay_alu instid0(VALU_DEP_1) | instskip(SKIP_1) | instid1(VALU_DEP_2)
	v_fmac_f64_e32 v[16:17], v[16:17], v[18:19]
	v_fmac_f64_e32 v[14:15], v[14:15], v[18:19]
	v_fma_f64 v[18:19], -v[16:17], v[16:17], v[12:13]
	s_delay_alu instid0(VALU_DEP_1) | instskip(NEXT) | instid1(VALU_DEP_1)
	v_fmac_f64_e32 v[16:17], v[18:19], v[14:15]
	v_fma_f64 v[18:19], -v[16:17], v[16:17], v[12:13]
	s_delay_alu instid0(VALU_DEP_1) | instskip(NEXT) | instid1(VALU_DEP_1)
	v_fmac_f64_e32 v[16:17], v[18:19], v[14:15]
	v_ldexp_f64 v[14:15], v[16:17], s3
	v_mov_b32_e32 v16, s4
	global_load_b64 v[16:17], v16, s[6:7] scale_offset
	v_cndmask_b32_e32 v13, v15, v13, vcc_lo
	s_delay_alu instid0(VALU_DEP_1) | instskip(SKIP_3) | instid1(VALU_DEP_3)
	v_and_b32_e32 v15, 0x7fffffff, v13
	v_or_b32_e32 v13, 0x80000000, v13
	v_cndmask_b32_e32 v12, v14, v12, vcc_lo
	v_cmp_nle_f64_e32 vcc_lo, 0, v[10:11]
	v_cndmask_b32_e32 v13, v15, v13, vcc_lo
	s_delay_alu instid0(VALU_DEP_1) | instskip(NEXT) | instid1(VALU_DEP_1)
	v_add_f64_e32 v[10:11], v[10:11], v[12:13]
	v_div_scale_f64 v[12:13], null, v[10:11], v[10:11], v[8:9]
	s_delay_alu instid0(VALU_DEP_1) | instskip(SKIP_1) | instid1(TRANS32_DEP_1)
	v_rcp_f64_e32 v[14:15], v[12:13]
	v_nop
	v_fma_f64 v[18:19], -v[12:13], v[14:15], 1.0
	s_delay_alu instid0(VALU_DEP_1) | instskip(NEXT) | instid1(VALU_DEP_1)
	v_fmac_f64_e32 v[14:15], v[14:15], v[18:19]
	v_fma_f64 v[18:19], -v[12:13], v[14:15], 1.0
	s_delay_alu instid0(VALU_DEP_1) | instskip(SKIP_1) | instid1(VALU_DEP_1)
	v_fmac_f64_e32 v[14:15], v[14:15], v[18:19]
	v_div_scale_f64 v[18:19], vcc_lo, v[8:9], v[10:11], v[8:9]
	v_mul_f64_e32 v[20:21], v[18:19], v[14:15]
	s_delay_alu instid0(VALU_DEP_1) | instskip(NEXT) | instid1(VALU_DEP_1)
	v_fma_f64 v[12:13], -v[12:13], v[20:21], v[18:19]
	v_div_fmas_f64 v[12:13], v[12:13], v[14:15], v[20:21]
	s_delay_alu instid0(VALU_DEP_1) | instskip(SKIP_1) | instid1(VALU_DEP_2)
	v_div_fixup_f64 v[8:9], v[12:13], v[10:11], v[8:9]
	v_mov_b64_e32 v[12:13], 0
	v_add_f64_e64 v[8:9], v[6:7], -v[8:9]
	s_wait_loadcnt 0x0
	s_delay_alu instid0(VALU_DEP_1) | instskip(SKIP_1) | instid1(VALU_DEP_1)
	v_add_f64_e64 v[14:15], v[16:17], -v[8:9]
	s_wait_xcnt 0x0
	v_mul_f64_e32 v[16:17], v[14:15], v[14:15]
	s_cbranch_scc1 .LBB2_144
; %bb.111:                              ;   in Loop: Header=BB2_101 Depth=2
	s_ashr_i32 s5, s4, 31
	s_delay_alu instid0(SALU_CYCLE_1) | instskip(NEXT) | instid1(SALU_CYCLE_1)
	s_lshl_b64 s[46:47], s[4:5], 3
	s_add_nc_u64 s[48:49], s[10:11], s[46:47]
	s_add_nc_u64 s[46:47], s[6:7], s[46:47]
	s_clause 0x1
	global_load_b64 v[10:11], v24, s[48:49]
	global_load_b64 v[20:21], v24, s[46:47] offset:8
	s_wait_loadcnt 0x1
	v_add_f64_e32 v[18:19], v[16:17], v[10:11]
	s_delay_alu instid0(VALU_DEP_1) | instskip(SKIP_2) | instid1(VALU_DEP_3)
	v_div_scale_f64 v[12:13], null, v[18:19], v[18:19], v[16:17]
	v_div_scale_f64 v[22:23], null, v[18:19], v[18:19], v[10:11]
	v_div_scale_f64 v[34:35], vcc_lo, v[16:17], v[18:19], v[16:17]
	v_rcp_f64_e32 v[26:27], v[12:13]
	s_delay_alu instid0(VALU_DEP_2) | instskip(NEXT) | instid1(TRANS32_DEP_2)
	v_rcp_f64_e32 v[28:29], v[22:23]
	v_fma_f64 v[30:31], -v[12:13], v[26:27], 1.0
	s_delay_alu instid0(TRANS32_DEP_1) | instskip(NEXT) | instid1(VALU_DEP_2)
	v_fma_f64 v[32:33], -v[22:23], v[28:29], 1.0
	v_fmac_f64_e32 v[26:27], v[26:27], v[30:31]
	s_delay_alu instid0(VALU_DEP_2) | instskip(NEXT) | instid1(VALU_DEP_2)
	v_fmac_f64_e32 v[28:29], v[28:29], v[32:33]
	v_fma_f64 v[30:31], -v[12:13], v[26:27], 1.0
	s_delay_alu instid0(VALU_DEP_2) | instskip(NEXT) | instid1(VALU_DEP_2)
	v_fma_f64 v[32:33], -v[22:23], v[28:29], 1.0
	v_fmac_f64_e32 v[26:27], v[26:27], v[30:31]
	v_div_scale_f64 v[30:31], s3, v[10:11], v[18:19], v[10:11]
	s_delay_alu instid0(VALU_DEP_3) | instskip(NEXT) | instid1(VALU_DEP_3)
	v_fmac_f64_e32 v[28:29], v[28:29], v[32:33]
	v_mul_f64_e32 v[32:33], v[34:35], v[26:27]
	s_delay_alu instid0(VALU_DEP_2) | instskip(NEXT) | instid1(VALU_DEP_2)
	v_mul_f64_e32 v[36:37], v[30:31], v[28:29]
	v_fma_f64 v[12:13], -v[12:13], v[32:33], v[34:35]
	s_delay_alu instid0(VALU_DEP_2) | instskip(NEXT) | instid1(VALU_DEP_2)
	v_fma_f64 v[22:23], -v[22:23], v[36:37], v[30:31]
	v_div_fmas_f64 v[26:27], v[12:13], v[26:27], v[32:33]
	s_mov_b32 vcc_lo, s3
	s_delay_alu instid0(VALU_DEP_2) | instskip(SKIP_2) | instid1(VALU_DEP_3)
	v_div_fmas_f64 v[12:13], v[22:23], v[28:29], v[36:37]
	s_wait_loadcnt 0x0
	v_add_f64_e64 v[22:23], v[20:21], -v[8:9]
	v_div_fixup_f64 v[16:17], v[26:27], v[18:19], v[16:17]
	s_delay_alu instid0(VALU_DEP_3) | instskip(NEXT) | instid1(VALU_DEP_2)
	v_div_fixup_f64 v[12:13], v[12:13], v[18:19], v[10:11]
	v_cmp_eq_f64_e32 vcc_lo, 0, v[16:17]
	s_delay_alu instid0(VALU_DEP_2) | instskip(SKIP_1) | instid1(VALU_DEP_1)
	v_mul_f64_e32 v[18:19], v[14:15], v[12:13]
	s_and_b32 vcc_lo, exec_lo, vcc_lo
	v_fma_f64 v[18:19], v[16:17], v[22:23], -v[18:19]
	s_delay_alu instid0(VALU_DEP_1) | instskip(NEXT) | instid1(VALU_DEP_1)
	v_add_f64_e64 v[20:21], v[20:21], -v[18:19]
	v_add_f64_e32 v[14:15], v[14:15], v[20:21]
	global_store_b64 v24, v[14:15], s[46:47]
	s_cbranch_vccnz .LBB2_113
; %bb.112:                              ;   in Loop: Header=BB2_101 Depth=2
	v_mul_f64_e32 v[10:11], v[18:19], v[18:19]
	s_wait_xcnt 0x0
	s_delay_alu instid0(VALU_DEP_1) | instskip(NEXT) | instid1(VALU_DEP_1)
	v_div_scale_f64 v[14:15], null, v[16:17], v[16:17], v[10:11]
	v_rcp_f64_e32 v[20:21], v[14:15]
	v_nop
	s_delay_alu instid0(TRANS32_DEP_1) | instskip(NEXT) | instid1(VALU_DEP_1)
	v_fma_f64 v[22:23], -v[14:15], v[20:21], 1.0
	v_fmac_f64_e32 v[20:21], v[20:21], v[22:23]
	s_delay_alu instid0(VALU_DEP_1) | instskip(NEXT) | instid1(VALU_DEP_1)
	v_fma_f64 v[22:23], -v[14:15], v[20:21], 1.0
	v_fmac_f64_e32 v[20:21], v[20:21], v[22:23]
	v_div_scale_f64 v[22:23], vcc_lo, v[10:11], v[16:17], v[10:11]
	s_delay_alu instid0(VALU_DEP_1) | instskip(NEXT) | instid1(VALU_DEP_1)
	v_mul_f64_e32 v[26:27], v[22:23], v[20:21]
	v_fma_f64 v[14:15], -v[14:15], v[26:27], v[22:23]
	s_delay_alu instid0(VALU_DEP_1) | instskip(NEXT) | instid1(VALU_DEP_1)
	v_div_fmas_f64 v[14:15], v[14:15], v[20:21], v[26:27]
	v_div_fixup_f64 v[10:11], v[14:15], v[16:17], v[10:11]
.LBB2_113:                              ;   in Loop: Header=BB2_101 Depth=2
	s_wait_xcnt 0x0
	s_add_co_i32 s46, s4, 1
	s_delay_alu instid0(SALU_CYCLE_1)
	s_cmp_ge_i32 s46, s40
	s_cbranch_scc1 .LBB2_142
; %bb.114:                              ;   in Loop: Header=BB2_101 Depth=2
	s_ashr_i32 s47, s46, 31
	s_mov_b32 s5, 1
	s_lshl_b64 s[48:49], s[46:47], 3
	s_delay_alu instid0(SALU_CYCLE_1)
	s_add_nc_u64 s[46:47], s[8:9], s[48:49]
	s_add_nc_u64 s[48:49], s[24:25], s[48:49]
	global_load_b64 v[20:21], v24, s[46:47]
	s_cmp_eq_u32 s5, 0
	s_wait_loadcnt 0x0
	v_add_f64_e32 v[14:15], v[10:11], v[20:21]
	s_cbranch_scc1 .LBB2_116
.LBB2_115:                              ;   in Loop: Header=BB2_101 Depth=2
	s_delay_alu instid0(VALU_DEP_1)
	v_mul_f64_e32 v[12:13], v[12:13], v[14:15]
	global_store_b64 v24, v[12:13], s[46:47] offset:-8
.LBB2_116:                              ;   Parent Loop BB2_3 Depth=1
                                        ;     Parent Loop BB2_101 Depth=2
                                        ; =>    This Inner Loop Header: Depth=3
	s_wait_xcnt 0x0
	s_delay_alu instid0(VALU_DEP_1)
	v_div_scale_f64 v[12:13], null, v[14:15], v[14:15], v[10:11]
	v_div_scale_f64 v[22:23], null, v[14:15], v[14:15], v[20:21]
	global_load_b64 v[26:27], v24, s[48:49]
	v_div_scale_f64 v[36:37], vcc_lo, v[10:11], v[14:15], v[10:11]
	v_rcp_f64_e32 v[28:29], v[12:13]
	v_rcp_f64_e32 v[30:31], v[22:23]
	s_delay_alu instid0(TRANS32_DEP_2) | instskip(NEXT) | instid1(TRANS32_DEP_1)
	v_fma_f64 v[32:33], -v[12:13], v[28:29], 1.0
	v_fma_f64 v[34:35], -v[22:23], v[30:31], 1.0
	s_delay_alu instid0(VALU_DEP_2) | instskip(NEXT) | instid1(VALU_DEP_2)
	v_fmac_f64_e32 v[28:29], v[28:29], v[32:33]
	v_fmac_f64_e32 v[30:31], v[30:31], v[34:35]
	s_delay_alu instid0(VALU_DEP_2) | instskip(NEXT) | instid1(VALU_DEP_2)
	v_fma_f64 v[32:33], -v[12:13], v[28:29], 1.0
	v_fma_f64 v[34:35], -v[22:23], v[30:31], 1.0
	s_delay_alu instid0(VALU_DEP_2) | instskip(SKIP_1) | instid1(VALU_DEP_3)
	v_fmac_f64_e32 v[28:29], v[28:29], v[32:33]
	v_div_scale_f64 v[32:33], s3, v[20:21], v[14:15], v[20:21]
	v_fmac_f64_e32 v[30:31], v[30:31], v[34:35]
	s_delay_alu instid0(VALU_DEP_3) | instskip(NEXT) | instid1(VALU_DEP_2)
	v_mul_f64_e32 v[34:35], v[36:37], v[28:29]
	v_mul_f64_e32 v[38:39], v[32:33], v[30:31]
	s_delay_alu instid0(VALU_DEP_2) | instskip(NEXT) | instid1(VALU_DEP_2)
	v_fma_f64 v[12:13], -v[12:13], v[34:35], v[36:37]
	v_fma_f64 v[22:23], -v[22:23], v[38:39], v[32:33]
	s_delay_alu instid0(VALU_DEP_2) | instskip(SKIP_1) | instid1(VALU_DEP_2)
	v_div_fmas_f64 v[28:29], v[12:13], v[28:29], v[34:35]
	s_mov_b32 vcc_lo, s3
	v_div_fmas_f64 v[12:13], v[22:23], v[30:31], v[38:39]
	s_delay_alu instid0(VALU_DEP_2) | instskip(NEXT) | instid1(VALU_DEP_2)
	v_div_fixup_f64 v[22:23], v[28:29], v[14:15], v[10:11]
	v_div_fixup_f64 v[12:13], v[12:13], v[14:15], v[20:21]
	s_wait_loadcnt 0x0
	v_add_f64_e64 v[10:11], v[26:27], -v[8:9]
	s_delay_alu instid0(VALU_DEP_3) | instskip(NEXT) | instid1(VALU_DEP_3)
	v_cmp_eq_f64_e32 vcc_lo, 0, v[22:23]
	v_mul_f64_e32 v[14:15], v[18:19], v[12:13]
	s_and_b32 vcc_lo, exec_lo, vcc_lo
	s_delay_alu instid0(VALU_DEP_1) | instskip(NEXT) | instid1(VALU_DEP_1)
	v_fma_f64 v[14:15], v[22:23], v[10:11], -v[14:15]
	v_add_f64_e64 v[10:11], v[26:27], -v[14:15]
	s_delay_alu instid0(VALU_DEP_1)
	v_add_f64_e32 v[10:11], v[18:19], v[10:11]
	global_store_b64 v24, v[10:11], s[48:49] offset:-8
	s_cbranch_vccz .LBB2_121
; %bb.117:                              ;   in Loop: Header=BB2_116 Depth=3
	s_wait_xcnt 0x0
	v_mul_f64_e32 v[10:11], v[16:17], v[20:21]
	s_cbranch_execnz .LBB2_119
.LBB2_118:                              ;   in Loop: Header=BB2_116 Depth=3
	s_wait_xcnt 0x0
	v_mul_f64_e32 v[10:11], v[14:15], v[14:15]
	s_delay_alu instid0(VALU_DEP_1) | instskip(NEXT) | instid1(VALU_DEP_1)
	v_div_scale_f64 v[16:17], null, v[22:23], v[22:23], v[10:11]
	v_rcp_f64_e32 v[18:19], v[16:17]
	v_nop
	s_delay_alu instid0(TRANS32_DEP_1) | instskip(NEXT) | instid1(VALU_DEP_1)
	v_fma_f64 v[20:21], -v[16:17], v[18:19], 1.0
	v_fmac_f64_e32 v[18:19], v[18:19], v[20:21]
	s_delay_alu instid0(VALU_DEP_1) | instskip(NEXT) | instid1(VALU_DEP_1)
	v_fma_f64 v[20:21], -v[16:17], v[18:19], 1.0
	v_fmac_f64_e32 v[18:19], v[18:19], v[20:21]
	v_div_scale_f64 v[20:21], vcc_lo, v[10:11], v[22:23], v[10:11]
	s_delay_alu instid0(VALU_DEP_1) | instskip(NEXT) | instid1(VALU_DEP_1)
	v_mul_f64_e32 v[26:27], v[20:21], v[18:19]
	v_fma_f64 v[16:17], -v[16:17], v[26:27], v[20:21]
	s_delay_alu instid0(VALU_DEP_1) | instskip(NEXT) | instid1(VALU_DEP_1)
	v_div_fmas_f64 v[16:17], v[16:17], v[18:19], v[26:27]
	v_div_fixup_f64 v[10:11], v[16:17], v[22:23], v[10:11]
.LBB2_119:                              ;   in Loop: Header=BB2_116 Depth=3
	s_add_co_i32 s5, s5, 1
	s_add_nc_u64 s[46:47], s[46:47], 8
	s_add_co_i32 s3, s4, s5
	s_wait_xcnt 0x0
	s_add_nc_u64 s[48:49], s[48:49], 8
	s_cmp_ge_i32 s3, s40
	s_cbranch_scc1 .LBB2_143
; %bb.120:                              ;   in Loop: Header=BB2_116 Depth=3
	v_mov_b64_e32 v[16:17], v[22:23]
	v_mov_b64_e32 v[18:19], v[14:15]
	global_load_b64 v[20:21], v24, s[46:47]
	s_cmp_eq_u32 s5, 0
	s_wait_loadcnt 0x0
	v_add_f64_e32 v[14:15], v[10:11], v[20:21]
	s_cbranch_scc0 .LBB2_115
	s_branch .LBB2_116
.LBB2_121:                              ;   in Loop: Header=BB2_116 Depth=3
                                        ; implicit-def: $vgpr10_vgpr11
	s_branch .LBB2_118
.LBB2_122:                              ;   in Loop: Header=BB2_101 Depth=2
	s_mov_b32 s40, s3
	s_cbranch_execz .LBB2_100
	s_branch .LBB2_146
.LBB2_123:                              ;   in Loop: Header=BB2_101 Depth=2
	s_mov_b32 s50, -1
	s_mov_b32 s3, 0
                                        ; implicit-def: $sgpr5
.LBB2_124:                              ;   in Loop: Header=BB2_101 Depth=2
	s_and_b32 vcc_lo, exec_lo, s50
	s_cbranch_vccz .LBB2_145
.LBB2_125:                              ;   in Loop: Header=BB2_101 Depth=2
	v_mov_b32_e32 v12, s4
	s_clause 0x1
	global_load_b64 v[8:9], v12, s[10:11] scale_offset
	global_load_b64 v[10:11], v12, s[6:7] scale_offset
	s_wait_loadcnt 0x1
	v_cmp_gt_f64_e32 vcc_lo, 0x10000000, v[8:9]
	s_and_b32 s3, vcc_lo, exec_lo
	s_cselect_b32 s3, 0x100, 0
	s_delay_alu instid0(SALU_CYCLE_1) | instskip(SKIP_2) | instid1(VALU_DEP_1)
	v_ldexp_f64 v[8:9], v[8:9], s3
	s_cselect_b32 s3, 0xffffff80, 0
	s_wait_xcnt 0x0
	v_rsq_f64_e32 v[12:13], v[8:9]
	v_cmp_class_f64_e64 vcc_lo, v[8:9], 0x260
	s_delay_alu instid0(TRANS32_DEP_1) | instskip(SKIP_1) | instid1(VALU_DEP_1)
	v_mul_f64_e32 v[14:15], v[8:9], v[12:13]
	v_mul_f64_e32 v[12:13], 0.5, v[12:13]
	v_fma_f64 v[16:17], -v[12:13], v[14:15], 0.5
	s_delay_alu instid0(VALU_DEP_1) | instskip(SKIP_1) | instid1(VALU_DEP_2)
	v_fmac_f64_e32 v[14:15], v[14:15], v[16:17]
	v_fmac_f64_e32 v[12:13], v[12:13], v[16:17]
	v_fma_f64 v[16:17], -v[14:15], v[14:15], v[8:9]
	s_delay_alu instid0(VALU_DEP_1) | instskip(NEXT) | instid1(VALU_DEP_1)
	v_fmac_f64_e32 v[14:15], v[16:17], v[12:13]
	v_fma_f64 v[16:17], -v[14:15], v[14:15], v[8:9]
	s_delay_alu instid0(VALU_DEP_1) | instskip(NEXT) | instid1(VALU_DEP_1)
	v_fmac_f64_e32 v[14:15], v[16:17], v[12:13]
	v_ldexp_f64 v[12:13], v[14:15], s3
	s_wait_loadcnt 0x0
	s_delay_alu instid0(VALU_DEP_1) | instskip(NEXT) | instid1(VALU_DEP_2)
	v_dual_add_f64 v[14:15], v[6:7], -v[10:11] :: v_dual_cndmask_b32 v8, v12, v8, vcc_lo
	v_cndmask_b32_e32 v9, v13, v9, vcc_lo
	s_delay_alu instid0(VALU_DEP_1) | instskip(NEXT) | instid1(VALU_DEP_1)
	v_add_f64_e32 v[16:17], v[8:9], v[8:9]
	v_cmp_ngt_f64_e64 s3, |v[14:15]|, |v[16:17]|
	s_and_b32 vcc_lo, exec_lo, s3
	s_cbranch_vccz .LBB2_128
; %bb.126:                              ;   in Loop: Header=BB2_101 Depth=2
	v_cmp_nlt_f64_e64 s3, |v[14:15]|, |v[16:17]|
	s_and_b32 vcc_lo, exec_lo, s3
	s_cbranch_vccz .LBB2_129
; %bb.127:                              ;   in Loop: Header=BB2_101 Depth=2
	v_mul_f64_e64 v[12:13], |v[16:17]|, s[20:21]
	s_cbranch_execz .LBB2_130
	s_branch .LBB2_131
.LBB2_128:                              ;   in Loop: Header=BB2_101 Depth=2
                                        ; implicit-def: $vgpr12_vgpr13
	s_branch .LBB2_132
.LBB2_129:                              ;   in Loop: Header=BB2_101 Depth=2
                                        ; implicit-def: $vgpr12_vgpr13
.LBB2_130:                              ;   in Loop: Header=BB2_101 Depth=2
	v_and_b32_e32 v13, 0x7fffffff, v15
	v_dual_mov_b32 v12, v14 :: v_dual_mov_b32 v18, v16
	v_and_b32_e32 v19, 0x7fffffff, v17
	s_delay_alu instid0(VALU_DEP_1) | instskip(SKIP_1) | instid1(VALU_DEP_2)
	v_div_scale_f64 v[20:21], null, v[18:19], v[18:19], v[12:13]
	v_div_scale_f64 v[12:13], vcc_lo, v[12:13], v[18:19], v[12:13]
	v_rcp_f64_e32 v[22:23], v[20:21]
	v_nop
	s_delay_alu instid0(TRANS32_DEP_1) | instskip(NEXT) | instid1(VALU_DEP_1)
	v_fma_f64 v[26:27], -v[20:21], v[22:23], 1.0
	v_fmac_f64_e32 v[22:23], v[22:23], v[26:27]
	s_delay_alu instid0(VALU_DEP_1) | instskip(NEXT) | instid1(VALU_DEP_1)
	v_fma_f64 v[26:27], -v[20:21], v[22:23], 1.0
	v_fmac_f64_e32 v[22:23], v[22:23], v[26:27]
	s_delay_alu instid0(VALU_DEP_1) | instskip(NEXT) | instid1(VALU_DEP_1)
	v_mul_f64_e32 v[18:19], v[12:13], v[22:23]
	v_fma_f64 v[12:13], -v[20:21], v[18:19], v[12:13]
	s_delay_alu instid0(VALU_DEP_1) | instskip(NEXT) | instid1(VALU_DEP_1)
	v_div_fmas_f64 v[12:13], v[12:13], v[22:23], v[18:19]
	v_div_fixup_f64 v[12:13], v[12:13], |v[16:17]|, |v[14:15]|
	s_delay_alu instid0(VALU_DEP_1) | instskip(NEXT) | instid1(VALU_DEP_1)
	v_fma_f64 v[12:13], v[12:13], v[12:13], 1.0
	v_cmp_gt_f64_e32 vcc_lo, 0x10000000, v[12:13]
	s_and_b32 s3, vcc_lo, exec_lo
	s_cselect_b32 s3, 0x100, 0
	s_delay_alu instid0(SALU_CYCLE_1) | instskip(SKIP_1) | instid1(VALU_DEP_1)
	v_ldexp_f64 v[12:13], v[12:13], s3
	s_cselect_b32 s3, 0xffffff80, 0
	v_rsq_f64_e32 v[18:19], v[12:13]
	v_cmp_class_f64_e64 vcc_lo, v[12:13], 0x260
	s_delay_alu instid0(TRANS32_DEP_1) | instskip(SKIP_1) | instid1(VALU_DEP_1)
	v_mul_f64_e32 v[20:21], v[12:13], v[18:19]
	v_mul_f64_e32 v[18:19], 0.5, v[18:19]
	v_fma_f64 v[22:23], -v[18:19], v[20:21], 0.5
	s_delay_alu instid0(VALU_DEP_1) | instskip(SKIP_1) | instid1(VALU_DEP_2)
	v_fmac_f64_e32 v[20:21], v[20:21], v[22:23]
	v_fmac_f64_e32 v[18:19], v[18:19], v[22:23]
	v_fma_f64 v[22:23], -v[20:21], v[20:21], v[12:13]
	s_delay_alu instid0(VALU_DEP_1) | instskip(NEXT) | instid1(VALU_DEP_1)
	v_fmac_f64_e32 v[20:21], v[22:23], v[18:19]
	v_fma_f64 v[22:23], -v[20:21], v[20:21], v[12:13]
	s_delay_alu instid0(VALU_DEP_1) | instskip(NEXT) | instid1(VALU_DEP_1)
	v_fmac_f64_e32 v[20:21], v[22:23], v[18:19]
	v_ldexp_f64 v[18:19], v[20:21], s3
	s_delay_alu instid0(VALU_DEP_1) | instskip(NEXT) | instid1(VALU_DEP_1)
	v_dual_cndmask_b32 v13, v19, v13 :: v_dual_cndmask_b32 v12, v18, v12
	v_mul_f64_e64 v[12:13], |v[16:17]|, v[12:13]
.LBB2_131:                              ;   in Loop: Header=BB2_101 Depth=2
	s_cbranch_execnz .LBB2_133
.LBB2_132:                              ;   in Loop: Header=BB2_101 Depth=2
	v_and_b32_e32 v13, 0x7fffffff, v17
	v_dual_mov_b32 v12, v16 :: v_dual_mov_b32 v18, v14
	v_and_b32_e32 v19, 0x7fffffff, v15
	s_delay_alu instid0(VALU_DEP_1) | instskip(SKIP_1) | instid1(VALU_DEP_2)
	v_div_scale_f64 v[20:21], null, v[18:19], v[18:19], v[12:13]
	v_div_scale_f64 v[12:13], vcc_lo, v[12:13], v[18:19], v[12:13]
	v_rcp_f64_e32 v[22:23], v[20:21]
	v_nop
	s_delay_alu instid0(TRANS32_DEP_1) | instskip(NEXT) | instid1(VALU_DEP_1)
	v_fma_f64 v[26:27], -v[20:21], v[22:23], 1.0
	v_fmac_f64_e32 v[22:23], v[22:23], v[26:27]
	s_delay_alu instid0(VALU_DEP_1) | instskip(NEXT) | instid1(VALU_DEP_1)
	v_fma_f64 v[26:27], -v[20:21], v[22:23], 1.0
	v_fmac_f64_e32 v[22:23], v[22:23], v[26:27]
	s_delay_alu instid0(VALU_DEP_1) | instskip(NEXT) | instid1(VALU_DEP_1)
	v_mul_f64_e32 v[18:19], v[12:13], v[22:23]
	v_fma_f64 v[12:13], -v[20:21], v[18:19], v[12:13]
	s_delay_alu instid0(VALU_DEP_1) | instskip(NEXT) | instid1(VALU_DEP_1)
	v_div_fmas_f64 v[12:13], v[12:13], v[22:23], v[18:19]
	v_div_fixup_f64 v[12:13], v[12:13], |v[14:15]|, |v[16:17]|
	s_delay_alu instid0(VALU_DEP_1) | instskip(NEXT) | instid1(VALU_DEP_1)
	v_fma_f64 v[12:13], v[12:13], v[12:13], 1.0
	v_cmp_gt_f64_e32 vcc_lo, 0x10000000, v[12:13]
	s_and_b32 s3, vcc_lo, exec_lo
	s_cselect_b32 s3, 0x100, 0
	s_delay_alu instid0(SALU_CYCLE_1) | instskip(SKIP_1) | instid1(VALU_DEP_1)
	v_ldexp_f64 v[12:13], v[12:13], s3
	s_cselect_b32 s3, 0xffffff80, 0
	v_rsq_f64_e32 v[16:17], v[12:13]
	v_cmp_class_f64_e64 vcc_lo, v[12:13], 0x260
	s_delay_alu instid0(TRANS32_DEP_1) | instskip(SKIP_1) | instid1(VALU_DEP_1)
	v_mul_f64_e32 v[18:19], v[12:13], v[16:17]
	v_mul_f64_e32 v[16:17], 0.5, v[16:17]
	v_fma_f64 v[20:21], -v[16:17], v[18:19], 0.5
	s_delay_alu instid0(VALU_DEP_1) | instskip(SKIP_1) | instid1(VALU_DEP_2)
	v_fmac_f64_e32 v[18:19], v[18:19], v[20:21]
	v_fmac_f64_e32 v[16:17], v[16:17], v[20:21]
	v_fma_f64 v[20:21], -v[18:19], v[18:19], v[12:13]
	s_delay_alu instid0(VALU_DEP_1) | instskip(NEXT) | instid1(VALU_DEP_1)
	v_fmac_f64_e32 v[18:19], v[20:21], v[16:17]
	v_fma_f64 v[20:21], -v[18:19], v[18:19], v[12:13]
	s_delay_alu instid0(VALU_DEP_1) | instskip(NEXT) | instid1(VALU_DEP_1)
	v_fmac_f64_e32 v[18:19], v[20:21], v[16:17]
	v_ldexp_f64 v[16:17], v[18:19], s3
	s_delay_alu instid0(VALU_DEP_1) | instskip(NEXT) | instid1(VALU_DEP_1)
	v_dual_cndmask_b32 v13, v17, v13 :: v_dual_cndmask_b32 v12, v16, v12
	v_mul_f64_e64 v[12:13], |v[14:15]|, v[12:13]
.LBB2_133:                              ;   in Loop: Header=BB2_101 Depth=2
	v_add_f64_e32 v[16:17], v[6:7], v[10:11]
	v_cmp_gt_f64_e64 vcc_lo, |v[6:7]|, |v[10:11]|
	s_delay_alu instid0(VALU_DEP_2)
	v_cmp_ngt_f64_e64 s3, 0, v[16:17]
	v_dual_cndmask_b32 v15, v7, v11 :: v_dual_cndmask_b32 v14, v6, v10
	v_dual_cndmask_b32 v7, v11, v7 :: v_dual_cndmask_b32 v6, v10, v6
	s_and_b32 vcc_lo, exec_lo, s3
	s_cbranch_vccz .LBB2_136
; %bb.134:                              ;   in Loop: Header=BB2_101 Depth=2
	v_cmp_nlt_f64_e32 vcc_lo, 0, v[16:17]
	s_cbranch_vccz .LBB2_137
; %bb.135:                              ;   in Loop: Header=BB2_101 Depth=2
	v_mul_f64_e32 v[10:11], 0.5, v[12:13]
	v_mul_f64_e32 v[18:19], -0.5, v[12:13]
	s_cbranch_execz .LBB2_138
	s_branch .LBB2_139
.LBB2_136:                              ;   in Loop: Header=BB2_101 Depth=2
                                        ; implicit-def: $vgpr18_vgpr19
                                        ; implicit-def: $vgpr10_vgpr11
	s_branch .LBB2_140
.LBB2_137:                              ;   in Loop: Header=BB2_101 Depth=2
                                        ; implicit-def: $vgpr18_vgpr19
                                        ; implicit-def: $vgpr10_vgpr11
.LBB2_138:                              ;   in Loop: Header=BB2_101 Depth=2
	v_add_f64_e32 v[10:11], v[16:17], v[12:13]
	s_delay_alu instid0(VALU_DEP_1) | instskip(NEXT) | instid1(VALU_DEP_1)
	v_mul_f64_e32 v[10:11], 0.5, v[10:11]
	v_div_scale_f64 v[18:19], null, v[10:11], v[10:11], v[6:7]
	v_div_scale_f64 v[20:21], null, v[10:11], v[10:11], v[8:9]
	v_div_scale_f64 v[32:33], vcc_lo, v[6:7], v[10:11], v[6:7]
	s_delay_alu instid0(VALU_DEP_3) | instskip(NEXT) | instid1(VALU_DEP_2)
	v_rcp_f64_e32 v[22:23], v[18:19]
	v_rcp_f64_e32 v[26:27], v[20:21]
	s_delay_alu instid0(TRANS32_DEP_2) | instskip(NEXT) | instid1(TRANS32_DEP_1)
	v_fma_f64 v[28:29], -v[18:19], v[22:23], 1.0
	v_fma_f64 v[30:31], -v[20:21], v[26:27], 1.0
	s_delay_alu instid0(VALU_DEP_2) | instskip(NEXT) | instid1(VALU_DEP_2)
	v_fmac_f64_e32 v[22:23], v[22:23], v[28:29]
	v_fmac_f64_e32 v[26:27], v[26:27], v[30:31]
	s_delay_alu instid0(VALU_DEP_2) | instskip(NEXT) | instid1(VALU_DEP_2)
	v_fma_f64 v[28:29], -v[18:19], v[22:23], 1.0
	v_fma_f64 v[30:31], -v[20:21], v[26:27], 1.0
	s_delay_alu instid0(VALU_DEP_2) | instskip(SKIP_1) | instid1(VALU_DEP_3)
	v_fmac_f64_e32 v[22:23], v[22:23], v[28:29]
	v_div_scale_f64 v[28:29], s3, v[8:9], v[10:11], v[8:9]
	v_fmac_f64_e32 v[26:27], v[26:27], v[30:31]
	s_delay_alu instid0(VALU_DEP_3) | instskip(NEXT) | instid1(VALU_DEP_2)
	v_mul_f64_e32 v[30:31], v[32:33], v[22:23]
	v_mul_f64_e32 v[34:35], v[28:29], v[26:27]
	s_delay_alu instid0(VALU_DEP_2) | instskip(NEXT) | instid1(VALU_DEP_2)
	v_fma_f64 v[18:19], -v[18:19], v[30:31], v[32:33]
	v_fma_f64 v[20:21], -v[20:21], v[34:35], v[28:29]
	s_delay_alu instid0(VALU_DEP_2) | instskip(SKIP_1) | instid1(VALU_DEP_2)
	v_div_fmas_f64 v[18:19], v[18:19], v[22:23], v[30:31]
	s_mov_b32 vcc_lo, s3
	v_div_fmas_f64 v[20:21], v[20:21], v[26:27], v[34:35]
	s_delay_alu instid0(VALU_DEP_2) | instskip(NEXT) | instid1(VALU_DEP_2)
	v_div_fixup_f64 v[18:19], v[18:19], v[10:11], v[6:7]
	v_div_fixup_f64 v[20:21], v[20:21], v[10:11], v[8:9]
	s_delay_alu instid0(VALU_DEP_1) | instskip(NEXT) | instid1(VALU_DEP_1)
	v_mul_f64_e32 v[20:21], v[8:9], v[20:21]
	v_fma_f64 v[18:19], v[14:15], v[18:19], -v[20:21]
.LBB2_139:                              ;   in Loop: Header=BB2_101 Depth=2
	s_cbranch_execnz .LBB2_141
.LBB2_140:                              ;   in Loop: Header=BB2_101 Depth=2
	v_add_f64_e64 v[10:11], v[16:17], -v[12:13]
	s_delay_alu instid0(VALU_DEP_1) | instskip(NEXT) | instid1(VALU_DEP_1)
	v_mul_f64_e32 v[10:11], 0.5, v[10:11]
	v_div_scale_f64 v[12:13], null, v[10:11], v[10:11], v[6:7]
	v_div_scale_f64 v[16:17], null, v[10:11], v[10:11], v[8:9]
	v_div_scale_f64 v[28:29], vcc_lo, v[6:7], v[10:11], v[6:7]
	s_delay_alu instid0(VALU_DEP_3) | instskip(NEXT) | instid1(VALU_DEP_2)
	v_rcp_f64_e32 v[18:19], v[12:13]
	v_rcp_f64_e32 v[20:21], v[16:17]
	s_delay_alu instid0(TRANS32_DEP_2) | instskip(NEXT) | instid1(TRANS32_DEP_1)
	v_fma_f64 v[22:23], -v[12:13], v[18:19], 1.0
	v_fma_f64 v[26:27], -v[16:17], v[20:21], 1.0
	s_delay_alu instid0(VALU_DEP_2) | instskip(NEXT) | instid1(VALU_DEP_2)
	v_fmac_f64_e32 v[18:19], v[18:19], v[22:23]
	v_fmac_f64_e32 v[20:21], v[20:21], v[26:27]
	s_delay_alu instid0(VALU_DEP_2) | instskip(NEXT) | instid1(VALU_DEP_2)
	v_fma_f64 v[22:23], -v[12:13], v[18:19], 1.0
	v_fma_f64 v[26:27], -v[16:17], v[20:21], 1.0
	s_delay_alu instid0(VALU_DEP_2) | instskip(SKIP_1) | instid1(VALU_DEP_3)
	v_fmac_f64_e32 v[18:19], v[18:19], v[22:23]
	v_div_scale_f64 v[22:23], s3, v[8:9], v[10:11], v[8:9]
	v_fmac_f64_e32 v[20:21], v[20:21], v[26:27]
	s_delay_alu instid0(VALU_DEP_3) | instskip(NEXT) | instid1(VALU_DEP_2)
	v_mul_f64_e32 v[26:27], v[28:29], v[18:19]
	v_mul_f64_e32 v[30:31], v[22:23], v[20:21]
	s_delay_alu instid0(VALU_DEP_2) | instskip(NEXT) | instid1(VALU_DEP_2)
	v_fma_f64 v[12:13], -v[12:13], v[26:27], v[28:29]
	v_fma_f64 v[16:17], -v[16:17], v[30:31], v[22:23]
	s_delay_alu instid0(VALU_DEP_2) | instskip(SKIP_1) | instid1(VALU_DEP_2)
	v_div_fmas_f64 v[12:13], v[12:13], v[18:19], v[26:27]
	s_mov_b32 vcc_lo, s3
	v_div_fmas_f64 v[16:17], v[16:17], v[20:21], v[30:31]
	s_delay_alu instid0(VALU_DEP_2) | instskip(NEXT) | instid1(VALU_DEP_2)
	v_div_fixup_f64 v[6:7], v[12:13], v[10:11], v[6:7]
	v_div_fixup_f64 v[16:17], v[16:17], v[10:11], v[8:9]
	s_delay_alu instid0(VALU_DEP_1) | instskip(NEXT) | instid1(VALU_DEP_1)
	v_mul_f64_e32 v[8:9], v[8:9], v[16:17]
	v_fma_f64 v[18:19], v[14:15], v[6:7], -v[8:9]
.LBB2_141:                              ;   in Loop: Header=BB2_101 Depth=2
	s_ashr_i32 s5, s4, 31
	global_store_b64 v24, v[10:11], s[42:43]
	s_lshl_b64 s[4:5], s[4:5], 3
	s_add_co_i32 s40, s40, -2
	s_wait_xcnt 0x0
	s_add_nc_u64 s[42:43], s[6:7], s[4:5]
	s_add_nc_u64 s[4:5], s[10:11], s[4:5]
	global_store_b64 v24, v[18:19], s[42:43]
	global_store_b64 v24, v[2:3], s[4:5]
	s_cbranch_execz .LBB2_100
	s_branch .LBB2_146
.LBB2_142:                              ;   in Loop: Header=BB2_101 Depth=2
	v_mov_b64_e32 v[14:15], v[18:19]
.LBB2_143:                              ;   in Loop: Header=BB2_101 Depth=2
	s_delay_alu instid0(VALU_DEP_1)
	v_mov_b64_e32 v[16:17], v[10:11]
.LBB2_144:                              ;   in Loop: Header=BB2_101 Depth=2
	s_delay_alu instid0(VALU_DEP_1) | instskip(NEXT) | instid1(VALU_DEP_3)
	v_mul_f64_e32 v[10:11], v[16:17], v[12:13]
	v_add_f64_e32 v[8:9], v[8:9], v[14:15]
	s_add_co_i32 s5, s58, 1
	s_mov_b32 s3, -1
	s_clause 0x1
	global_store_b64 v24, v[10:11], s[44:45] offset:-8
	global_store_b64 v24, v[8:9], s[42:43]
	s_and_b32 vcc_lo, exec_lo, s50
	s_cbranch_vccnz .LBB2_125
.LBB2_145:                              ;   in Loop: Header=BB2_101 Depth=2
	s_mov_b32 s58, s5
	s_and_b32 vcc_lo, exec_lo, s3
	s_cbranch_vccz .LBB2_100
.LBB2_146:                              ;   in Loop: Header=BB2_101 Depth=2
	s_cmp_lt_i32 s40, s31
	s_cselect_b32 s3, -1, 0
	s_cmp_ge_i32 s58, s56
	s_wait_xcnt 0x0
	s_cselect_b32 s4, -1, 0
	s_delay_alu instid0(SALU_CYCLE_1)
	s_or_b32 s41, s3, s4
	s_branch .LBB2_100
.LBB2_147:
	s_cmp_lt_i32 s33, 2
	s_cbranch_scc1 .LBB2_158
; %bb.148:
	s_load_b64 s[0:1], s[0:1], 0x28
	v_mov_b32_e32 v0, 0
	s_lshl_b64 s[2:3], s[16:17], 2
	s_wait_kmcnt 0x0
	s_add_nc_u64 s[0:1], s[0:1], s[2:3]
	s_mov_b32 s2, 1
	s_branch .LBB2_150
.LBB2_149:                              ;   in Loop: Header=BB2_150 Depth=1
	s_add_co_i32 s2, s2, 1
	s_wait_xcnt 0x0
	s_add_nc_u64 s[10:11], s[10:11], 8
	s_cmp_lg_u32 s33, s2
	s_cbranch_scc0 .LBB2_152
.LBB2_150:                              ; =>This Inner Loop Header: Depth=1
	global_load_b64 v[2:3], v0, s[10:11]
	s_wait_loadcnt 0x0
	v_cmp_eq_f64_e32 vcc_lo, 0, v[2:3]
	s_cbranch_vccnz .LBB2_149
; %bb.151:                              ;   in Loop: Header=BB2_150 Depth=1
	global_load_b32 v1, v0, s[0:1]
	s_wait_loadcnt 0x0
	v_add_nc_u32_e32 v1, 1, v1
	global_store_b32 v0, v1, s[0:1]
	s_branch .LBB2_149
.LBB2_152:
	v_mov_b32_e32 v4, 0
	s_add_nc_u64 s[0:1], s[6:7], 8
	s_mov_b32 s2, 1
	s_branch .LBB2_154
.LBB2_153:                              ;   in Loop: Header=BB2_154 Depth=1
	s_add_co_i32 s2, s2, 1
	s_add_nc_u64 s[0:1], s[0:1], 8
	s_cmp_lg_u32 s2, s33
	s_cbranch_scc0 .LBB2_158
.LBB2_154:                              ; =>This Loop Header: Depth=1
                                        ;     Child Loop BB2_155 Depth 2
	s_wait_xcnt 0x1
	v_mov_b32_e32 v0, s2
	s_ashr_i32 s3, s2, 31
	s_mov_b64 s[8:9], s[0:1]
	s_wait_xcnt 0x0
	s_lshl_b64 s[4:5], s[2:3], 3
	s_add_co_i32 s3, s2, -1
	global_load_b64 v[0:1], v0, s[6:7] offset:-8 scale_offset
	s_add_nc_u64 s[4:5], s[6:7], s[4:5]
	s_mov_b32 s11, s2
	s_mov_b32 s10, s3
	s_wait_loadcnt 0x0
	v_mov_b64_e32 v[2:3], v[0:1]
.LBB2_155:                              ;   Parent Loop BB2_154 Depth=1
                                        ; =>  This Inner Loop Header: Depth=2
	global_load_b64 v[6:7], v4, s[8:9]
	s_wait_xcnt 0x0
	s_add_nc_u64 s[8:9], s[8:9], 8
	s_wait_loadcnt 0x0
	v_cmp_lt_f64_e32 vcc_lo, v[6:7], v[2:3]
	v_dual_cndmask_b32 v3, v3, v7 :: v_dual_cndmask_b32 v2, v2, v6
	s_and_b32 s12, vcc_lo, exec_lo
	s_cselect_b32 s10, s11, s10
	s_add_co_i32 s11, s11, 1
	s_delay_alu instid0(SALU_CYCLE_1)
	s_cmp_eq_u32 s33, s11
	s_cbranch_scc0 .LBB2_155
; %bb.156:                              ;   in Loop: Header=BB2_154 Depth=1
	s_cmp_lg_u32 s10, s3
	s_cbranch_scc0 .LBB2_153
; %bb.157:                              ;   in Loop: Header=BB2_154 Depth=1
	v_mov_b32_e32 v5, s10
	s_clause 0x1
	global_store_b64 v5, v[0:1], s[6:7] scale_offset
	global_store_b64 v4, v[2:3], s[4:5] offset:-8
	s_branch .LBB2_153
.LBB2_158:
	s_endpgm
	.section	.rodata,"a",@progbits
	.p2align	6, 0x0
	.amdhsa_kernel _ZN9rocsolver6v33100L12sterf_kernelIdEEviPT_lS3_lPiS4_iS2_S2_S2_
		.amdhsa_group_segment_fixed_size 0
		.amdhsa_private_segment_fixed_size 0
		.amdhsa_kernarg_size 88
		.amdhsa_user_sgpr_count 2
		.amdhsa_user_sgpr_dispatch_ptr 0
		.amdhsa_user_sgpr_queue_ptr 0
		.amdhsa_user_sgpr_kernarg_segment_ptr 1
		.amdhsa_user_sgpr_dispatch_id 0
		.amdhsa_user_sgpr_kernarg_preload_length 0
		.amdhsa_user_sgpr_kernarg_preload_offset 0
		.amdhsa_user_sgpr_private_segment_size 0
		.amdhsa_wavefront_size32 1
		.amdhsa_uses_dynamic_stack 0
		.amdhsa_enable_private_segment 0
		.amdhsa_system_sgpr_workgroup_id_x 1
		.amdhsa_system_sgpr_workgroup_id_y 0
		.amdhsa_system_sgpr_workgroup_id_z 0
		.amdhsa_system_sgpr_workgroup_info 0
		.amdhsa_system_vgpr_workitem_id 0
		.amdhsa_next_free_vgpr 40
		.amdhsa_next_free_sgpr 60
		.amdhsa_named_barrier_count 0
		.amdhsa_reserve_vcc 1
		.amdhsa_float_round_mode_32 0
		.amdhsa_float_round_mode_16_64 0
		.amdhsa_float_denorm_mode_32 3
		.amdhsa_float_denorm_mode_16_64 3
		.amdhsa_fp16_overflow 0
		.amdhsa_memory_ordered 1
		.amdhsa_forward_progress 1
		.amdhsa_inst_pref_size 75
		.amdhsa_round_robin_scheduling 0
		.amdhsa_exception_fp_ieee_invalid_op 0
		.amdhsa_exception_fp_denorm_src 0
		.amdhsa_exception_fp_ieee_div_zero 0
		.amdhsa_exception_fp_ieee_overflow 0
		.amdhsa_exception_fp_ieee_underflow 0
		.amdhsa_exception_fp_ieee_inexact 0
		.amdhsa_exception_int_div_zero 0
	.end_amdhsa_kernel
	.section	.text._ZN9rocsolver6v33100L12sterf_kernelIdEEviPT_lS3_lPiS4_iS2_S2_S2_,"axG",@progbits,_ZN9rocsolver6v33100L12sterf_kernelIdEEviPT_lS3_lPiS4_iS2_S2_S2_,comdat
.Lfunc_end2:
	.size	_ZN9rocsolver6v33100L12sterf_kernelIdEEviPT_lS3_lPiS4_iS2_S2_S2_, .Lfunc_end2-_ZN9rocsolver6v33100L12sterf_kernelIdEEviPT_lS3_lPiS4_iS2_S2_S2_
                                        ; -- End function
	.set _ZN9rocsolver6v33100L12sterf_kernelIdEEviPT_lS3_lPiS4_iS2_S2_S2_.num_vgpr, 40
	.set _ZN9rocsolver6v33100L12sterf_kernelIdEEviPT_lS3_lPiS4_iS2_S2_S2_.num_agpr, 0
	.set _ZN9rocsolver6v33100L12sterf_kernelIdEEviPT_lS3_lPiS4_iS2_S2_S2_.numbered_sgpr, 60
	.set _ZN9rocsolver6v33100L12sterf_kernelIdEEviPT_lS3_lPiS4_iS2_S2_S2_.num_named_barrier, 0
	.set _ZN9rocsolver6v33100L12sterf_kernelIdEEviPT_lS3_lPiS4_iS2_S2_S2_.private_seg_size, 0
	.set _ZN9rocsolver6v33100L12sterf_kernelIdEEviPT_lS3_lPiS4_iS2_S2_S2_.uses_vcc, 1
	.set _ZN9rocsolver6v33100L12sterf_kernelIdEEviPT_lS3_lPiS4_iS2_S2_S2_.uses_flat_scratch, 0
	.set _ZN9rocsolver6v33100L12sterf_kernelIdEEviPT_lS3_lPiS4_iS2_S2_S2_.has_dyn_sized_stack, 0
	.set _ZN9rocsolver6v33100L12sterf_kernelIdEEviPT_lS3_lPiS4_iS2_S2_S2_.has_recursion, 0
	.set _ZN9rocsolver6v33100L12sterf_kernelIdEEviPT_lS3_lPiS4_iS2_S2_S2_.has_indirect_call, 0
	.section	.AMDGPU.csdata,"",@progbits
; Kernel info:
; codeLenInByte = 9484
; TotalNumSgprs: 62
; NumVgprs: 40
; ScratchSize: 0
; MemoryBound: 0
; FloatMode: 240
; IeeeMode: 1
; LDSByteSize: 0 bytes/workgroup (compile time only)
; SGPRBlocks: 0
; VGPRBlocks: 2
; NumSGPRsForWavesPerEU: 62
; NumVGPRsForWavesPerEU: 40
; NamedBarCnt: 0
; Occupancy: 16
; WaveLimiterHint : 0
; COMPUTE_PGM_RSRC2:SCRATCH_EN: 0
; COMPUTE_PGM_RSRC2:USER_SGPR: 2
; COMPUTE_PGM_RSRC2:TRAP_HANDLER: 0
; COMPUTE_PGM_RSRC2:TGID_X_EN: 1
; COMPUTE_PGM_RSRC2:TGID_Y_EN: 0
; COMPUTE_PGM_RSRC2:TGID_Z_EN: 0
; COMPUTE_PGM_RSRC2:TIDIG_COMP_CNT: 0
	.section	.AMDGPU.gpr_maximums,"",@progbits
	.set amdgpu.max_num_vgpr, 0
	.set amdgpu.max_num_agpr, 0
	.set amdgpu.max_num_sgpr, 0
	.section	.AMDGPU.csdata,"",@progbits
	.type	__hip_cuid_2b335e9f22086a5d,@object ; @__hip_cuid_2b335e9f22086a5d
	.section	.bss,"aw",@nobits
	.globl	__hip_cuid_2b335e9f22086a5d
__hip_cuid_2b335e9f22086a5d:
	.byte	0                               ; 0x0
	.size	__hip_cuid_2b335e9f22086a5d, 1

	.ident	"AMD clang version 22.0.0git (https://github.com/RadeonOpenCompute/llvm-project roc-7.2.4 26084 f58b06dce1f9c15707c5f808fd002e18c2accf7e)"
	.section	".note.GNU-stack","",@progbits
	.addrsig
	.addrsig_sym __hip_cuid_2b335e9f22086a5d
	.amdgpu_metadata
---
amdhsa.kernels:
  - .args:
      - .address_space:  global
        .offset:         0
        .size:           8
        .value_kind:     global_buffer
      - .offset:         8
        .size:           4
        .value_kind:     by_value
      - .offset:         12
        .size:           4
        .value_kind:     by_value
      - .offset:         16
        .size:           4
        .value_kind:     by_value
      - .offset:         24
        .size:           4
        .value_kind:     hidden_block_count_x
      - .offset:         28
        .size:           4
        .value_kind:     hidden_block_count_y
      - .offset:         32
        .size:           4
        .value_kind:     hidden_block_count_z
      - .offset:         36
        .size:           2
        .value_kind:     hidden_group_size_x
      - .offset:         38
        .size:           2
        .value_kind:     hidden_group_size_y
      - .offset:         40
        .size:           2
        .value_kind:     hidden_group_size_z
      - .offset:         42
        .size:           2
        .value_kind:     hidden_remainder_x
      - .offset:         44
        .size:           2
        .value_kind:     hidden_remainder_y
      - .offset:         46
        .size:           2
        .value_kind:     hidden_remainder_z
      - .offset:         64
        .size:           8
        .value_kind:     hidden_global_offset_x
      - .offset:         72
        .size:           8
        .value_kind:     hidden_global_offset_y
      - .offset:         80
        .size:           8
        .value_kind:     hidden_global_offset_z
      - .offset:         88
        .size:           2
        .value_kind:     hidden_grid_dims
    .group_segment_fixed_size: 0
    .kernarg_segment_align: 8
    .kernarg_segment_size: 280
    .language:       OpenCL C
    .language_version:
      - 2
      - 0
    .max_flat_workgroup_size: 1024
    .name:           _ZN9rocsolver6v33100L10reset_infoIiiiEEvPT_T0_T1_S4_
    .private_segment_fixed_size: 0
    .sgpr_count:     9
    .sgpr_spill_count: 0
    .symbol:         _ZN9rocsolver6v33100L10reset_infoIiiiEEvPT_T0_T1_S4_.kd
    .uniform_work_group_size: 1
    .uses_dynamic_stack: false
    .vgpr_count:     2
    .vgpr_spill_count: 0
    .wavefront_size: 32
  - .args:
      - .offset:         0
        .size:           4
        .value_kind:     by_value
      - .address_space:  global
        .offset:         8
        .size:           8
        .value_kind:     global_buffer
      - .offset:         16
        .size:           8
        .value_kind:     by_value
      - .address_space:  global
        .offset:         24
        .size:           8
        .value_kind:     global_buffer
      - .offset:         32
        .size:           8
        .value_kind:     by_value
      - .address_space:  global
        .offset:         40
        .size:           8
        .value_kind:     global_buffer
      - .address_space:  global
        .offset:         48
        .size:           8
        .value_kind:     global_buffer
      - .offset:         56
        .size:           4
        .value_kind:     by_value
      - .offset:         60
        .size:           4
        .value_kind:     by_value
      - .offset:         64
        .size:           4
        .value_kind:     by_value
      - .offset:         68
        .size:           4
        .value_kind:     by_value
    .group_segment_fixed_size: 0
    .kernarg_segment_align: 8
    .kernarg_segment_size: 72
    .language:       OpenCL C
    .language_version:
      - 2
      - 0
    .max_flat_workgroup_size: 1024
    .name:           _ZN9rocsolver6v33100L12sterf_kernelIfEEviPT_lS3_lPiS4_iS2_S2_S2_
    .private_segment_fixed_size: 0
    .sgpr_count:     62
    .sgpr_spill_count: 0
    .symbol:         _ZN9rocsolver6v33100L12sterf_kernelIfEEviPT_lS3_lPiS4_iS2_S2_S2_.kd
    .uniform_work_group_size: 1
    .uses_dynamic_stack: false
    .vgpr_count:     30
    .vgpr_spill_count: 0
    .wavefront_size: 32
  - .args:
      - .offset:         0
        .size:           4
        .value_kind:     by_value
      - .address_space:  global
        .offset:         8
        .size:           8
        .value_kind:     global_buffer
      - .offset:         16
        .size:           8
        .value_kind:     by_value
      - .address_space:  global
        .offset:         24
        .size:           8
        .value_kind:     global_buffer
      - .offset:         32
        .size:           8
        .value_kind:     by_value
      - .address_space:  global
        .offset:         40
        .size:           8
        .value_kind:     global_buffer
      - .address_space:  global
        .offset:         48
        .size:           8
        .value_kind:     global_buffer
      - .offset:         56
        .size:           4
        .value_kind:     by_value
      - .offset:         64
        .size:           8
        .value_kind:     by_value
      - .offset:         72
        .size:           8
        .value_kind:     by_value
      - .offset:         80
        .size:           8
        .value_kind:     by_value
    .group_segment_fixed_size: 0
    .kernarg_segment_align: 8
    .kernarg_segment_size: 88
    .language:       OpenCL C
    .language_version:
      - 2
      - 0
    .max_flat_workgroup_size: 1024
    .name:           _ZN9rocsolver6v33100L12sterf_kernelIdEEviPT_lS3_lPiS4_iS2_S2_S2_
    .private_segment_fixed_size: 0
    .sgpr_count:     62
    .sgpr_spill_count: 0
    .symbol:         _ZN9rocsolver6v33100L12sterf_kernelIdEEviPT_lS3_lPiS4_iS2_S2_S2_.kd
    .uniform_work_group_size: 1
    .uses_dynamic_stack: false
    .vgpr_count:     40
    .vgpr_spill_count: 0
    .wavefront_size: 32
amdhsa.target:   amdgcn-amd-amdhsa--gfx1250
amdhsa.version:
  - 1
  - 2
...

	.end_amdgpu_metadata
